;; amdgpu-corpus repo=ROCm/rocFFT kind=compiled arch=gfx1201 opt=O3
	.text
	.amdgcn_target "amdgcn-amd-amdhsa--gfx1201"
	.amdhsa_code_object_version 6
	.protected	fft_rtc_fwd_len3000_factors_10_3_10_10_wgs_100_tpt_100_halfLds_dp_op_CI_CI_unitstride_sbrr_C2R_dirReg ; -- Begin function fft_rtc_fwd_len3000_factors_10_3_10_10_wgs_100_tpt_100_halfLds_dp_op_CI_CI_unitstride_sbrr_C2R_dirReg
	.globl	fft_rtc_fwd_len3000_factors_10_3_10_10_wgs_100_tpt_100_halfLds_dp_op_CI_CI_unitstride_sbrr_C2R_dirReg
	.p2align	8
	.type	fft_rtc_fwd_len3000_factors_10_3_10_10_wgs_100_tpt_100_halfLds_dp_op_CI_CI_unitstride_sbrr_C2R_dirReg,@function
fft_rtc_fwd_len3000_factors_10_3_10_10_wgs_100_tpt_100_halfLds_dp_op_CI_CI_unitstride_sbrr_C2R_dirReg: ; @fft_rtc_fwd_len3000_factors_10_3_10_10_wgs_100_tpt_100_halfLds_dp_op_CI_CI_unitstride_sbrr_C2R_dirReg
; %bb.0:
	s_clause 0x2
	s_load_b128 s[8:11], s[0:1], 0x0
	s_load_b128 s[4:7], s[0:1], 0x58
	;; [unrolled: 1-line block ×3, first 2 shown]
	v_mul_u32_u24_e32 v1, 0x290, v0
	v_mov_b32_e32 v3, 0
	s_delay_alu instid0(VALU_DEP_2) | instskip(NEXT) | instid1(VALU_DEP_1)
	v_lshrrev_b32_e32 v1, 16, v1
	v_add_nc_u32_e32 v5, ttmp9, v1
	v_mov_b32_e32 v1, 0
	v_mov_b32_e32 v2, 0
	;; [unrolled: 1-line block ×3, first 2 shown]
	s_wait_kmcnt 0x0
	v_cmp_lt_u64_e64 s2, s[10:11], 2
	s_delay_alu instid0(VALU_DEP_1)
	s_and_b32 vcc_lo, exec_lo, s2
	s_cbranch_vccnz .LBB0_8
; %bb.1:
	s_load_b64 s[2:3], s[0:1], 0x10
	v_mov_b32_e32 v1, 0
	v_mov_b32_e32 v2, 0
	s_add_nc_u64 s[16:17], s[14:15], 8
	s_add_nc_u64 s[18:19], s[12:13], 8
	s_mov_b64 s[20:21], 1
	s_delay_alu instid0(VALU_DEP_1)
	v_dual_mov_b32 v123, v2 :: v_dual_mov_b32 v122, v1
	s_wait_kmcnt 0x0
	s_add_nc_u64 s[22:23], s[2:3], 8
	s_mov_b32 s3, 0
.LBB0_2:                                ; =>This Inner Loop Header: Depth=1
	s_load_b64 s[24:25], s[22:23], 0x0
                                        ; implicit-def: $vgpr241_vgpr242
	s_mov_b32 s2, exec_lo
	s_wait_kmcnt 0x0
	v_or_b32_e32 v4, s25, v6
	s_delay_alu instid0(VALU_DEP_1)
	v_cmpx_ne_u64_e32 0, v[3:4]
	s_wait_alu 0xfffe
	s_xor_b32 s26, exec_lo, s2
	s_cbranch_execz .LBB0_4
; %bb.3:                                ;   in Loop: Header=BB0_2 Depth=1
	s_cvt_f32_u32 s2, s24
	s_cvt_f32_u32 s27, s25
	s_sub_nc_u64 s[30:31], 0, s[24:25]
	s_wait_alu 0xfffe
	s_delay_alu instid0(SALU_CYCLE_1) | instskip(SKIP_1) | instid1(SALU_CYCLE_2)
	s_fmamk_f32 s2, s27, 0x4f800000, s2
	s_wait_alu 0xfffe
	v_s_rcp_f32 s2, s2
	s_delay_alu instid0(TRANS32_DEP_1) | instskip(SKIP_1) | instid1(SALU_CYCLE_2)
	s_mul_f32 s2, s2, 0x5f7ffffc
	s_wait_alu 0xfffe
	s_mul_f32 s27, s2, 0x2f800000
	s_wait_alu 0xfffe
	s_delay_alu instid0(SALU_CYCLE_2) | instskip(SKIP_1) | instid1(SALU_CYCLE_2)
	s_trunc_f32 s27, s27
	s_wait_alu 0xfffe
	s_fmamk_f32 s2, s27, 0xcf800000, s2
	s_cvt_u32_f32 s29, s27
	s_wait_alu 0xfffe
	s_delay_alu instid0(SALU_CYCLE_1) | instskip(SKIP_1) | instid1(SALU_CYCLE_2)
	s_cvt_u32_f32 s28, s2
	s_wait_alu 0xfffe
	s_mul_u64 s[34:35], s[30:31], s[28:29]
	s_wait_alu 0xfffe
	s_mul_hi_u32 s37, s28, s35
	s_mul_i32 s36, s28, s35
	s_mul_hi_u32 s2, s28, s34
	s_mul_i32 s33, s29, s34
	s_wait_alu 0xfffe
	s_add_nc_u64 s[36:37], s[2:3], s[36:37]
	s_mul_hi_u32 s27, s29, s34
	s_mul_hi_u32 s38, s29, s35
	s_add_co_u32 s2, s36, s33
	s_wait_alu 0xfffe
	s_add_co_ci_u32 s2, s37, s27
	s_mul_i32 s34, s29, s35
	s_add_co_ci_u32 s35, s38, 0
	s_wait_alu 0xfffe
	s_add_nc_u64 s[34:35], s[2:3], s[34:35]
	s_wait_alu 0xfffe
	v_add_co_u32 v4, s2, s28, s34
	s_delay_alu instid0(VALU_DEP_1) | instskip(SKIP_1) | instid1(VALU_DEP_1)
	s_cmp_lg_u32 s2, 0
	s_add_co_ci_u32 s29, s29, s35
	v_readfirstlane_b32 s28, v4
	s_wait_alu 0xfffe
	s_delay_alu instid0(VALU_DEP_1)
	s_mul_u64 s[30:31], s[30:31], s[28:29]
	s_wait_alu 0xfffe
	s_mul_hi_u32 s35, s28, s31
	s_mul_i32 s34, s28, s31
	s_mul_hi_u32 s2, s28, s30
	s_mul_i32 s33, s29, s30
	s_wait_alu 0xfffe
	s_add_nc_u64 s[34:35], s[2:3], s[34:35]
	s_mul_hi_u32 s27, s29, s30
	s_mul_hi_u32 s28, s29, s31
	s_wait_alu 0xfffe
	s_add_co_u32 s2, s34, s33
	s_add_co_ci_u32 s2, s35, s27
	s_mul_i32 s30, s29, s31
	s_add_co_ci_u32 s31, s28, 0
	s_wait_alu 0xfffe
	s_add_nc_u64 s[30:31], s[2:3], s[30:31]
	s_wait_alu 0xfffe
	v_add_co_u32 v4, s2, v4, s30
	s_delay_alu instid0(VALU_DEP_1) | instskip(SKIP_1) | instid1(VALU_DEP_1)
	s_cmp_lg_u32 s2, 0
	s_add_co_ci_u32 s2, s29, s31
	v_mul_hi_u32 v13, v5, v4
	s_wait_alu 0xfffe
	v_mad_co_u64_u32 v[7:8], null, v5, s2, 0
	v_mad_co_u64_u32 v[9:10], null, v6, v4, 0
	;; [unrolled: 1-line block ×3, first 2 shown]
	s_delay_alu instid0(VALU_DEP_3) | instskip(SKIP_1) | instid1(VALU_DEP_4)
	v_add_co_u32 v4, vcc_lo, v13, v7
	s_wait_alu 0xfffd
	v_add_co_ci_u32_e32 v7, vcc_lo, 0, v8, vcc_lo
	s_delay_alu instid0(VALU_DEP_2) | instskip(SKIP_1) | instid1(VALU_DEP_2)
	v_add_co_u32 v4, vcc_lo, v4, v9
	s_wait_alu 0xfffd
	v_add_co_ci_u32_e32 v4, vcc_lo, v7, v10, vcc_lo
	s_wait_alu 0xfffd
	v_add_co_ci_u32_e32 v7, vcc_lo, 0, v12, vcc_lo
	s_delay_alu instid0(VALU_DEP_2) | instskip(SKIP_1) | instid1(VALU_DEP_2)
	v_add_co_u32 v4, vcc_lo, v4, v11
	s_wait_alu 0xfffd
	v_add_co_ci_u32_e32 v9, vcc_lo, 0, v7, vcc_lo
	s_delay_alu instid0(VALU_DEP_2) | instskip(SKIP_1) | instid1(VALU_DEP_3)
	v_mul_lo_u32 v10, s25, v4
	v_mad_co_u64_u32 v[7:8], null, s24, v4, 0
	v_mul_lo_u32 v11, s24, v9
	s_delay_alu instid0(VALU_DEP_2) | instskip(NEXT) | instid1(VALU_DEP_2)
	v_sub_co_u32 v7, vcc_lo, v5, v7
	v_add3_u32 v8, v8, v11, v10
	s_delay_alu instid0(VALU_DEP_1) | instskip(SKIP_1) | instid1(VALU_DEP_1)
	v_sub_nc_u32_e32 v10, v6, v8
	s_wait_alu 0xfffd
	v_subrev_co_ci_u32_e64 v10, s2, s25, v10, vcc_lo
	v_add_co_u32 v11, s2, v4, 2
	s_wait_alu 0xf1ff
	v_add_co_ci_u32_e64 v12, s2, 0, v9, s2
	v_sub_co_u32 v13, s2, v7, s24
	v_sub_co_ci_u32_e32 v8, vcc_lo, v6, v8, vcc_lo
	s_wait_alu 0xf1ff
	v_subrev_co_ci_u32_e64 v10, s2, 0, v10, s2
	s_delay_alu instid0(VALU_DEP_3) | instskip(NEXT) | instid1(VALU_DEP_3)
	v_cmp_le_u32_e32 vcc_lo, s24, v13
	v_cmp_eq_u32_e64 s2, s25, v8
	s_wait_alu 0xfffd
	v_cndmask_b32_e64 v13, 0, -1, vcc_lo
	v_cmp_le_u32_e32 vcc_lo, s25, v10
	s_wait_alu 0xfffd
	v_cndmask_b32_e64 v14, 0, -1, vcc_lo
	v_cmp_le_u32_e32 vcc_lo, s24, v7
	;; [unrolled: 3-line block ×3, first 2 shown]
	s_wait_alu 0xfffd
	v_cndmask_b32_e64 v15, 0, -1, vcc_lo
	v_cmp_eq_u32_e32 vcc_lo, s25, v10
	s_wait_alu 0xf1ff
	s_delay_alu instid0(VALU_DEP_2)
	v_cndmask_b32_e64 v7, v15, v7, s2
	s_wait_alu 0xfffd
	v_cndmask_b32_e32 v10, v14, v13, vcc_lo
	v_add_co_u32 v13, vcc_lo, v4, 1
	s_wait_alu 0xfffd
	v_add_co_ci_u32_e32 v14, vcc_lo, 0, v9, vcc_lo
	s_delay_alu instid0(VALU_DEP_3) | instskip(SKIP_2) | instid1(VALU_DEP_3)
	v_cmp_ne_u32_e32 vcc_lo, 0, v10
	s_wait_alu 0xfffd
	v_cndmask_b32_e32 v10, v13, v11, vcc_lo
	v_cndmask_b32_e32 v8, v14, v12, vcc_lo
	v_cmp_ne_u32_e32 vcc_lo, 0, v7
	s_wait_alu 0xfffd
	s_delay_alu instid0(VALU_DEP_2)
	v_dual_cndmask_b32 v241, v4, v10 :: v_dual_cndmask_b32 v242, v9, v8
.LBB0_4:                                ;   in Loop: Header=BB0_2 Depth=1
	s_wait_alu 0xfffe
	s_and_not1_saveexec_b32 s2, s26
	s_cbranch_execz .LBB0_6
; %bb.5:                                ;   in Loop: Header=BB0_2 Depth=1
	v_cvt_f32_u32_e32 v4, s24
	s_sub_co_i32 s26, 0, s24
	v_mov_b32_e32 v242, v3
	s_delay_alu instid0(VALU_DEP_2) | instskip(NEXT) | instid1(TRANS32_DEP_1)
	v_rcp_iflag_f32_e32 v4, v4
	v_mul_f32_e32 v4, 0x4f7ffffe, v4
	s_delay_alu instid0(VALU_DEP_1) | instskip(SKIP_1) | instid1(VALU_DEP_1)
	v_cvt_u32_f32_e32 v4, v4
	s_wait_alu 0xfffe
	v_mul_lo_u32 v7, s26, v4
	s_delay_alu instid0(VALU_DEP_1) | instskip(NEXT) | instid1(VALU_DEP_1)
	v_mul_hi_u32 v7, v4, v7
	v_add_nc_u32_e32 v4, v4, v7
	s_delay_alu instid0(VALU_DEP_1) | instskip(NEXT) | instid1(VALU_DEP_1)
	v_mul_hi_u32 v4, v5, v4
	v_mul_lo_u32 v7, v4, s24
	v_add_nc_u32_e32 v8, 1, v4
	s_delay_alu instid0(VALU_DEP_2) | instskip(NEXT) | instid1(VALU_DEP_1)
	v_sub_nc_u32_e32 v7, v5, v7
	v_subrev_nc_u32_e32 v9, s24, v7
	v_cmp_le_u32_e32 vcc_lo, s24, v7
	s_wait_alu 0xfffd
	s_delay_alu instid0(VALU_DEP_2) | instskip(NEXT) | instid1(VALU_DEP_1)
	v_dual_cndmask_b32 v7, v7, v9 :: v_dual_cndmask_b32 v4, v4, v8
	v_cmp_le_u32_e32 vcc_lo, s24, v7
	s_delay_alu instid0(VALU_DEP_2) | instskip(SKIP_1) | instid1(VALU_DEP_1)
	v_add_nc_u32_e32 v8, 1, v4
	s_wait_alu 0xfffd
	v_cndmask_b32_e32 v241, v4, v8, vcc_lo
.LBB0_6:                                ;   in Loop: Header=BB0_2 Depth=1
	s_wait_alu 0xfffe
	s_or_b32 exec_lo, exec_lo, s2
	v_mul_lo_u32 v4, v242, s24
	s_delay_alu instid0(VALU_DEP_2)
	v_mul_lo_u32 v9, v241, s25
	s_load_b64 s[26:27], s[18:19], 0x0
	v_mad_co_u64_u32 v[7:8], null, v241, s24, 0
	s_load_b64 s[24:25], s[16:17], 0x0
	s_add_nc_u64 s[20:21], s[20:21], 1
	s_add_nc_u64 s[16:17], s[16:17], 8
	s_wait_alu 0xfffe
	v_cmp_ge_u64_e64 s2, s[20:21], s[10:11]
	s_add_nc_u64 s[18:19], s[18:19], 8
	s_add_nc_u64 s[22:23], s[22:23], 8
	v_add3_u32 v4, v8, v9, v4
	v_sub_co_u32 v5, vcc_lo, v5, v7
	s_wait_alu 0xfffd
	s_delay_alu instid0(VALU_DEP_2) | instskip(SKIP_2) | instid1(VALU_DEP_1)
	v_sub_co_ci_u32_e32 v4, vcc_lo, v6, v4, vcc_lo
	s_and_b32 vcc_lo, exec_lo, s2
	s_wait_kmcnt 0x0
	v_mul_lo_u32 v6, s26, v4
	v_mul_lo_u32 v7, s27, v5
	v_mad_co_u64_u32 v[1:2], null, s26, v5, v[1:2]
	v_mul_lo_u32 v4, s24, v4
	v_mul_lo_u32 v8, s25, v5
	v_mad_co_u64_u32 v[122:123], null, s24, v5, v[122:123]
	s_delay_alu instid0(VALU_DEP_4) | instskip(NEXT) | instid1(VALU_DEP_2)
	v_add3_u32 v2, v7, v2, v6
	v_add3_u32 v123, v8, v123, v4
	s_wait_alu 0xfffe
	s_cbranch_vccnz .LBB0_9
; %bb.7:                                ;   in Loop: Header=BB0_2 Depth=1
	v_dual_mov_b32 v5, v241 :: v_dual_mov_b32 v6, v242
	s_branch .LBB0_2
.LBB0_8:
	v_dual_mov_b32 v123, v2 :: v_dual_mov_b32 v122, v1
	v_dual_mov_b32 v242, v6 :: v_dual_mov_b32 v241, v5
.LBB0_9:
	s_load_b64 s[0:1], s[0:1], 0x28
	v_mul_hi_u32 v3, 0x28f5c29, v0
	s_lshl_b64 s[10:11], s[10:11], 3
                                        ; implicit-def: $vgpr120
	s_wait_alu 0xfffe
	s_add_nc_u64 s[2:3], s[14:15], s[10:11]
	s_wait_kmcnt 0x0
	v_cmp_gt_u64_e32 vcc_lo, s[0:1], v[241:242]
	v_cmp_le_u64_e64 s0, s[0:1], v[241:242]
	s_delay_alu instid0(VALU_DEP_1)
	s_and_saveexec_b32 s1, s0
	s_wait_alu 0xfffe
	s_xor_b32 s0, exec_lo, s1
; %bb.10:
	v_mul_u32_u24_e32 v1, 0x64, v3
                                        ; implicit-def: $vgpr3
	s_delay_alu instid0(VALU_DEP_1)
	v_sub_nc_u32_e32 v120, v0, v1
                                        ; implicit-def: $vgpr0
                                        ; implicit-def: $vgpr1_vgpr2
; %bb.11:
	s_wait_alu 0xfffe
	s_or_saveexec_b32 s1, s0
	s_load_b64 s[2:3], s[2:3], 0x0
	s_xor_b32 exec_lo, exec_lo, s1
	s_cbranch_execz .LBB0_15
; %bb.12:
	s_add_nc_u64 s[10:11], s[12:13], s[10:11]
	v_lshlrev_b64_e32 v[1:2], 4, v[1:2]
	s_load_b64 s[10:11], s[10:11], 0x0
	s_wait_kmcnt 0x0
	v_mul_lo_u32 v6, s11, v241
	v_mul_lo_u32 v7, s10, v242
	v_mad_co_u64_u32 v[4:5], null, s10, v241, 0
	s_delay_alu instid0(VALU_DEP_1) | instskip(SKIP_1) | instid1(VALU_DEP_2)
	v_add3_u32 v5, v5, v7, v6
	v_mul_u32_u24_e32 v6, 0x64, v3
	v_lshlrev_b64_e32 v[3:4], 4, v[4:5]
	s_delay_alu instid0(VALU_DEP_2) | instskip(NEXT) | instid1(VALU_DEP_1)
	v_sub_nc_u32_e32 v120, v0, v6
	v_lshlrev_b32_e32 v121, 4, v120
	s_delay_alu instid0(VALU_DEP_3) | instskip(SKIP_1) | instid1(VALU_DEP_4)
	v_add_co_u32 v0, s0, s4, v3
	s_wait_alu 0xf1ff
	v_add_co_ci_u32_e64 v3, s0, s5, v4, s0
	s_delay_alu instid0(VALU_DEP_2) | instskip(SKIP_1) | instid1(VALU_DEP_2)
	v_add_co_u32 v0, s0, v0, v1
	s_wait_alu 0xf1ff
	v_add_co_ci_u32_e64 v1, s0, v3, v2, s0
	s_delay_alu instid0(VALU_DEP_2) | instskip(SKIP_1) | instid1(VALU_DEP_2)
	v_add_co_u32 v118, s0, v0, v121
	s_wait_alu 0xf1ff
	v_add_co_ci_u32_e64 v119, s0, 0, v1, s0
	s_clause 0x1d
	global_load_b128 v[2:5], v[118:119], off offset:1600
	global_load_b128 v[6:9], v[118:119], off offset:3200
	;; [unrolled: 1-line block ×28, first 2 shown]
	global_load_b128 v[114:117], v[118:119], off
	global_load_b128 v[126:129], v[118:119], off offset:46400
	v_add_nc_u32_e32 v118, 0, v121
	v_cmp_eq_u32_e64 s0, 0x63, v120
	s_wait_loadcnt 0x1d
	ds_store_b128 v118, v[2:5] offset:1600
	s_wait_loadcnt 0x1c
	ds_store_b128 v118, v[6:9] offset:3200
	;; [unrolled: 2-line block ×28, first 2 shown]
	s_wait_loadcnt 0x1
	ds_store_b128 v118, v[114:117]
	s_wait_loadcnt 0x0
	ds_store_b128 v118, v[126:129] offset:46400
	s_and_saveexec_b32 s4, s0
	s_cbranch_execz .LBB0_14
; %bb.13:
	global_load_b128 v[0:3], v[0:1], off offset:48000
	v_mov_b32_e32 v4, 0
	v_mov_b32_e32 v120, 0x63
	s_wait_loadcnt 0x0
	ds_store_b128 v4, v[0:3] offset:48000
.LBB0_14:
	s_wait_alu 0xfffe
	s_or_b32 exec_lo, exec_lo, s4
.LBB0_15:
	s_delay_alu instid0(SALU_CYCLE_1)
	s_or_b32 exec_lo, exec_lo, s1
	v_lshlrev_b32_e32 v0, 4, v120
	global_wb scope:SCOPE_SE
	s_wait_dscnt 0x0
	s_wait_kmcnt 0x0
	s_barrier_signal -1
	s_barrier_wait -1
	global_inv scope:SCOPE_SE
	v_add_nc_u32_e32 v208, 0, v0
	v_sub_nc_u32_e32 v10, 0, v0
	s_mov_b32 s1, exec_lo
                                        ; implicit-def: $vgpr4_vgpr5
	ds_load_b64 v[6:7], v208
	ds_load_b64 v[8:9], v10 offset:48000
	s_wait_dscnt 0x0
	v_add_f64_e32 v[0:1], v[6:7], v[8:9]
	v_add_f64_e64 v[2:3], v[6:7], -v[8:9]
	v_cmpx_ne_u32_e32 0, v120
	s_wait_alu 0xfffe
	s_xor_b32 s1, exec_lo, s1
	s_cbranch_execz .LBB0_17
; %bb.16:
	v_mov_b32_e32 v121, 0
	v_add_f64_e32 v[13:14], v[6:7], v[8:9]
	v_add_f64_e64 v[15:16], v[6:7], -v[8:9]
	s_delay_alu instid0(VALU_DEP_3) | instskip(NEXT) | instid1(VALU_DEP_1)
	v_lshlrev_b64_e32 v[0:1], 4, v[120:121]
	v_add_co_u32 v0, s0, s8, v0
	s_wait_alu 0xf1ff
	s_delay_alu instid0(VALU_DEP_2)
	v_add_co_ci_u32_e64 v1, s0, s9, v1, s0
	global_load_b128 v[2:5], v[0:1], off offset:47840
	ds_load_b64 v[0:1], v10 offset:48008
	ds_load_b64 v[11:12], v208 offset:8
	s_wait_dscnt 0x0
	v_add_f64_e32 v[6:7], v[0:1], v[11:12]
	v_add_f64_e64 v[0:1], v[11:12], -v[0:1]
	s_wait_loadcnt 0x0
	v_fma_f64 v[8:9], v[15:16], v[4:5], v[13:14]
	v_fma_f64 v[11:12], -v[15:16], v[4:5], v[13:14]
	s_delay_alu instid0(VALU_DEP_3) | instskip(SKIP_1) | instid1(VALU_DEP_4)
	v_fma_f64 v[13:14], v[6:7], v[4:5], -v[0:1]
	v_fma_f64 v[4:5], v[6:7], v[4:5], v[0:1]
	v_fma_f64 v[0:1], -v[6:7], v[2:3], v[8:9]
	s_delay_alu instid0(VALU_DEP_4) | instskip(NEXT) | instid1(VALU_DEP_4)
	v_fma_f64 v[6:7], v[6:7], v[2:3], v[11:12]
	v_fma_f64 v[8:9], v[15:16], v[2:3], v[13:14]
	s_delay_alu instid0(VALU_DEP_4)
	v_fma_f64 v[2:3], v[15:16], v[2:3], v[4:5]
	v_dual_mov_b32 v4, v120 :: v_dual_mov_b32 v5, v121
	ds_store_b128 v10, v[6:9] offset:48000
.LBB0_17:
	s_wait_alu 0xfffe
	s_and_not1_saveexec_b32 s0, s1
	s_cbranch_execz .LBB0_19
; %bb.18:
	v_mov_b32_e32 v8, 0
	ds_load_b128 v[4:7], v8 offset:24000
	s_wait_dscnt 0x0
	v_add_f64_e32 v[11:12], v[4:5], v[4:5]
	v_mul_f64_e32 v[13:14], -2.0, v[6:7]
	v_mov_b32_e32 v4, 0
	v_mov_b32_e32 v5, 0
	ds_store_b128 v8, v[11:14] offset:24000
.LBB0_19:
	s_wait_alu 0xfffe
	s_or_b32 exec_lo, exec_lo, s0
	v_lshlrev_b64_e32 v[4:5], 4, v[4:5]
	s_add_nc_u64 s[0:1], s[8:9], 0xbae0
	v_mul_u32_u24_e32 v205, 10, v120
	v_and_b32_e32 v190, 0xff, v120
	v_add_nc_u32_e32 v224, 0x190, v120
	v_add_nc_u32_e32 v121, 0xc8, v120
	s_wait_alu 0xfffe
	v_add_co_u32 v4, s0, s0, v4
	s_wait_alu 0xf1ff
	v_add_co_ci_u32_e64 v5, s0, s1, v5, s0
	v_add_nc_u32_e32 v255, 0x12c, v120
	v_add_nc_u16 v209, v120, 0x64
	s_mov_b32 s4, 0x134454ff
	s_clause 0x1
	global_load_b128 v[6:9], v[4:5], off offset:1600
	global_load_b128 v[11:14], v[4:5], off offset:3200
	ds_store_b128 v208, v[0:3]
	ds_load_b128 v[0:3], v208 offset:1600
	ds_load_b128 v[15:18], v10 offset:46400
	global_load_b128 v[19:22], v[4:5], off offset:4800
	s_mov_b32 s5, 0x3fee6f0e
	s_mov_b32 s13, 0xbfee6f0e
	s_wait_alu 0xfffe
	s_mov_b32 s12, s4
	s_mov_b32 s0, 0x4755a5e
	;; [unrolled: 1-line block ×4, first 2 shown]
	s_wait_alu 0xfffe
	s_mov_b32 s10, s0
	s_mov_b32 s14, 0x372fe950
	;; [unrolled: 1-line block ×9, first 2 shown]
	s_wait_dscnt 0x0
	v_add_f64_e32 v[23:24], v[0:1], v[15:16]
	v_add_f64_e32 v[25:26], v[17:18], v[2:3]
	v_add_f64_e64 v[27:28], v[0:1], -v[15:16]
	v_add_f64_e64 v[0:1], v[2:3], -v[17:18]
	s_wait_loadcnt 0x2
	s_delay_alu instid0(VALU_DEP_2) | instskip(NEXT) | instid1(VALU_DEP_2)
	v_fma_f64 v[2:3], v[27:28], v[8:9], v[23:24]
	v_fma_f64 v[15:16], v[25:26], v[8:9], v[0:1]
	v_fma_f64 v[17:18], -v[27:28], v[8:9], v[23:24]
	v_fma_f64 v[8:9], v[25:26], v[8:9], -v[0:1]
	s_delay_alu instid0(VALU_DEP_4) | instskip(NEXT) | instid1(VALU_DEP_4)
	v_fma_f64 v[0:1], -v[25:26], v[6:7], v[2:3]
	v_fma_f64 v[2:3], v[27:28], v[6:7], v[15:16]
	s_delay_alu instid0(VALU_DEP_4) | instskip(NEXT) | instid1(VALU_DEP_4)
	v_fma_f64 v[15:16], v[25:26], v[6:7], v[17:18]
	v_fma_f64 v[17:18], v[27:28], v[6:7], v[8:9]
	ds_store_b128 v208, v[0:3] offset:1600
	ds_store_b128 v10, v[15:18] offset:46400
	ds_load_b128 v[0:3], v208 offset:3200
	ds_load_b128 v[6:9], v10 offset:44800
	global_load_b128 v[15:18], v[4:5], off offset:6400
	s_wait_dscnt 0x0
	v_add_f64_e32 v[23:24], v[0:1], v[6:7]
	v_add_f64_e32 v[25:26], v[8:9], v[2:3]
	v_add_f64_e64 v[27:28], v[0:1], -v[6:7]
	v_add_f64_e64 v[0:1], v[2:3], -v[8:9]
	s_wait_loadcnt 0x2
	s_delay_alu instid0(VALU_DEP_2) | instskip(NEXT) | instid1(VALU_DEP_2)
	v_fma_f64 v[2:3], v[27:28], v[13:14], v[23:24]
	v_fma_f64 v[6:7], v[25:26], v[13:14], v[0:1]
	v_fma_f64 v[8:9], -v[27:28], v[13:14], v[23:24]
	v_fma_f64 v[13:14], v[25:26], v[13:14], -v[0:1]
	s_delay_alu instid0(VALU_DEP_4) | instskip(NEXT) | instid1(VALU_DEP_4)
	v_fma_f64 v[0:1], -v[25:26], v[11:12], v[2:3]
	v_fma_f64 v[2:3], v[27:28], v[11:12], v[6:7]
	s_delay_alu instid0(VALU_DEP_4) | instskip(NEXT) | instid1(VALU_DEP_4)
	v_fma_f64 v[6:7], v[25:26], v[11:12], v[8:9]
	v_fma_f64 v[8:9], v[27:28], v[11:12], v[13:14]
	ds_store_b128 v208, v[0:3] offset:3200
	ds_store_b128 v10, v[6:9] offset:44800
	ds_load_b128 v[0:3], v208 offset:4800
	ds_load_b128 v[6:9], v10 offset:43200
	global_load_b128 v[11:14], v[4:5], off offset:8000
	;; [unrolled: 22-line block ×11, first 2 shown]
	s_wait_dscnt 0x0
	v_add_f64_e32 v[4:5], v[0:1], v[6:7]
	v_add_f64_e32 v[23:24], v[8:9], v[2:3]
	v_add_f64_e64 v[6:7], v[0:1], -v[6:7]
	v_add_f64_e64 v[0:1], v[2:3], -v[8:9]
	s_wait_loadcnt 0x2
	s_delay_alu instid0(VALU_DEP_2) | instskip(NEXT) | instid1(VALU_DEP_2)
	v_fma_f64 v[2:3], v[6:7], v[21:22], v[4:5]
	v_fma_f64 v[8:9], v[23:24], v[21:22], v[0:1]
	v_fma_f64 v[4:5], -v[6:7], v[21:22], v[4:5]
	v_fma_f64 v[21:22], v[23:24], v[21:22], -v[0:1]
	s_delay_alu instid0(VALU_DEP_4) | instskip(NEXT) | instid1(VALU_DEP_4)
	v_fma_f64 v[0:1], -v[23:24], v[19:20], v[2:3]
	v_fma_f64 v[2:3], v[6:7], v[19:20], v[8:9]
	s_delay_alu instid0(VALU_DEP_4) | instskip(NEXT) | instid1(VALU_DEP_4)
	v_fma_f64 v[4:5], v[23:24], v[19:20], v[4:5]
	v_fma_f64 v[6:7], v[6:7], v[19:20], v[21:22]
	ds_store_b128 v208, v[0:3] offset:19200
	ds_store_b128 v10, v[4:7] offset:28800
	ds_load_b128 v[0:3], v208 offset:20800
	ds_load_b128 v[4:7], v10 offset:27200
	s_wait_dscnt 0x0
	v_add_f64_e32 v[8:9], v[0:1], v[4:5]
	v_add_f64_e32 v[19:20], v[6:7], v[2:3]
	v_add_f64_e64 v[21:22], v[0:1], -v[4:5]
	v_add_f64_e64 v[0:1], v[2:3], -v[6:7]
	s_wait_loadcnt 0x1
	s_delay_alu instid0(VALU_DEP_2) | instskip(NEXT) | instid1(VALU_DEP_2)
	v_fma_f64 v[2:3], v[21:22], v[17:18], v[8:9]
	v_fma_f64 v[4:5], v[19:20], v[17:18], v[0:1]
	v_fma_f64 v[6:7], -v[21:22], v[17:18], v[8:9]
	v_fma_f64 v[8:9], v[19:20], v[17:18], -v[0:1]
	s_delay_alu instid0(VALU_DEP_4) | instskip(NEXT) | instid1(VALU_DEP_4)
	v_fma_f64 v[0:1], -v[19:20], v[15:16], v[2:3]
	v_fma_f64 v[2:3], v[21:22], v[15:16], v[4:5]
	s_delay_alu instid0(VALU_DEP_4) | instskip(NEXT) | instid1(VALU_DEP_4)
	v_fma_f64 v[4:5], v[19:20], v[15:16], v[6:7]
	v_fma_f64 v[6:7], v[21:22], v[15:16], v[8:9]
	ds_store_b128 v208, v[0:3] offset:20800
	ds_store_b128 v10, v[4:7] offset:27200
	ds_load_b128 v[0:3], v208 offset:22400
	ds_load_b128 v[4:7], v10 offset:25600
	s_wait_dscnt 0x0
	v_add_f64_e32 v[8:9], v[0:1], v[4:5]
	v_add_f64_e32 v[15:16], v[6:7], v[2:3]
	v_add_f64_e64 v[17:18], v[0:1], -v[4:5]
	v_add_f64_e64 v[0:1], v[2:3], -v[6:7]
	s_wait_loadcnt 0x0
	s_delay_alu instid0(VALU_DEP_2) | instskip(NEXT) | instid1(VALU_DEP_2)
	v_fma_f64 v[2:3], v[17:18], v[13:14], v[8:9]
	v_fma_f64 v[4:5], v[15:16], v[13:14], v[0:1]
	v_fma_f64 v[6:7], -v[17:18], v[13:14], v[8:9]
	v_fma_f64 v[8:9], v[15:16], v[13:14], -v[0:1]
	s_delay_alu instid0(VALU_DEP_4) | instskip(NEXT) | instid1(VALU_DEP_4)
	v_fma_f64 v[0:1], -v[15:16], v[11:12], v[2:3]
	v_fma_f64 v[2:3], v[17:18], v[11:12], v[4:5]
	s_delay_alu instid0(VALU_DEP_4) | instskip(NEXT) | instid1(VALU_DEP_4)
	v_fma_f64 v[4:5], v[15:16], v[11:12], v[6:7]
	v_fma_f64 v[6:7], v[17:18], v[11:12], v[8:9]
	ds_store_b128 v208, v[0:3] offset:22400
	ds_store_b128 v10, v[4:7] offset:25600
	global_wb scope:SCOPE_SE
	s_wait_dscnt 0x0
	s_barrier_signal -1
	s_barrier_wait -1
	global_inv scope:SCOPE_SE
	global_wb scope:SCOPE_SE
	s_barrier_signal -1
	s_barrier_wait -1
	global_inv scope:SCOPE_SE
	ds_load_b128 v[50:53], v208 offset:9600
	ds_load_b128 v[90:93], v208 offset:8000
	ds_load_b128 v[70:73], v208
	ds_load_b128 v[0:3], v208 offset:46400
	ds_load_b128 v[74:77], v208 offset:19200
	;; [unrolled: 1-line block ×27, first 2 shown]
	s_wait_dscnt 0x15
	v_add_f64_e32 v[110:111], v[78:79], v[62:63]
	v_add_f64_e64 v[44:45], v[74:75], -v[50:51]
	v_add_f64_e32 v[108:109], v[72:73], v[52:53]
	v_add_f64_e32 v[116:117], v[80:81], v[64:65]
	s_wait_dscnt 0x13
	v_add_f64_e32 v[118:119], v[74:75], v[158:159]
	s_wait_dscnt 0x11
	v_add_f64_e32 v[130:131], v[50:51], v[16:17]
	v_add_f64_e32 v[132:133], v[76:77], v[160:161]
	s_wait_dscnt 0xf
	v_add_f64_e64 v[220:221], v[64:65], -v[96:97]
	v_add_f64_e64 v[231:232], v[96:97], -v[64:65]
	s_wait_dscnt 0xb
	v_add_f64_e64 v[60:61], v[64:65], -v[14:15]
	v_add_f64_e32 v[146:147], v[64:65], v[14:15]
	v_add_f64_e32 v[106:107], v[70:71], v[50:51]
	s_wait_dscnt 0x7
	v_add_f64_e32 v[156:157], v[114:115], v[68:69]
	v_add_f64_e64 v[152:153], v[76:77], -v[160:161]
	s_wait_dscnt 0x5
	v_add_f64_e64 v[206:207], v[68:69], -v[104:105]
	v_add_f64_e64 v[218:219], v[104:105], -v[68:69]
	;; [unrolled: 1-line block ×3, first 2 shown]
	v_add_f64_e32 v[148:149], v[112:113], v[66:67]
	s_wait_dscnt 0x1
	v_add_f64_e32 v[168:169], v[68:69], v[22:23]
	v_add_f64_e64 v[64:65], v[68:69], -v[22:23]
	v_add_f64_e64 v[48:49], v[52:53], -v[18:19]
	v_add_f64_e32 v[134:135], v[52:53], v[18:19]
	v_add_f64_e32 v[136:137], v[94:95], v[32:33]
	v_add_f64_e64 v[216:217], v[62:63], -v[94:95]
	v_add_f64_e64 v[222:223], v[94:95], -v[62:63]
	v_add_f64_e32 v[144:145], v[96:97], v[34:35]
	v_add_f64_e32 v[162:163], v[102:103], v[40:41]
	v_add_f64_e64 v[237:238], v[66:67], -v[102:103]
	v_add_f64_e64 v[239:240], v[102:103], -v[66:67]
	v_add_f64_e32 v[164:165], v[104:105], v[42:43]
	v_add_f64_e64 v[58:59], v[102:103], -v[40:41]
	v_add_f64_e32 v[166:167], v[66:67], v[20:21]
	v_add_f64_e32 v[170:171], v[82:83], v[86:87]
	;; [unrolled: 1-line block ×8, first 2 shown]
	scratch_store_b64 off, v[44:45], off    ; 8-byte Folded Spill
	v_add_f64_e64 v[44:45], v[158:159], -v[16:17]
	v_add_f64_e32 v[124:125], v[108:109], v[76:77]
	v_add_f64_e32 v[225:226], v[126:127], v[138:139]
	;; [unrolled: 1-line block ×5, first 2 shown]
	s_wait_dscnt 0x0
	v_add_f64_e32 v[249:250], v[138:139], v[8:9]
	v_add_f64_e32 v[251:252], v[140:141], v[10:11]
	;; [unrolled: 1-line block ×5, first 2 shown]
	v_add_f64_e64 v[195:196], v[50:51], -v[74:75]
	v_add_f64_e64 v[150:151], v[74:75], -v[158:159]
	;; [unrolled: 1-line block ×4, first 2 shown]
	v_add_f64_e32 v[74:75], v[106:107], v[74:75]
	v_add_f64_e64 v[106:107], v[86:87], -v[98:99]
	v_add_f64_e64 v[108:109], v[98:99], -v[86:87]
	v_fma_f64 v[146:147], v[146:147], -0.5, v[80:81]
	v_add_f64_e64 v[212:213], v[18:19], -v[160:161]
	v_add_f64_e64 v[229:230], v[14:15], -v[34:35]
	;; [unrolled: 1-line block ×11, first 2 shown]
	v_add_f64_e32 v[142:143], v[62:63], v[12:13]
	v_add_f64_e64 v[50:51], v[50:51], -v[16:17]
	v_add_f64_e64 v[62:63], v[62:63], -v[12:13]
	;; [unrolled: 1-line block ×3, first 2 shown]
	scratch_store_b64 off, v[68:69], off offset:24 ; 8-byte Folded Spill
	v_add_f64_e32 v[68:69], v[116:117], v[96:97]
	scratch_store_b64 off, v[44:45], off offset:56 ; 8-byte Folded Spill
	v_add_f64_e64 v[44:45], v[76:77], -v[52:53]
	v_fma_f64 v[76:77], v[118:119], -0.5, v[70:71]
	v_fma_f64 v[116:117], v[130:131], -0.5, v[70:71]
	;; [unrolled: 1-line block ×3, first 2 shown]
	v_add_f64_e64 v[52:53], v[94:95], -v[32:33]
	v_add_f64_e32 v[94:95], v[90:91], v[186:187]
	v_fma_f64 v[118:119], v[134:135], -0.5, v[72:73]
	v_fma_f64 v[134:135], v[136:137], -0.5, v[78:79]
	v_fma_f64 v[130:131], v[144:145], -0.5, v[80:81]
	v_add_f64_e64 v[72:73], v[98:99], -v[28:29]
	v_add_f64_e64 v[96:97], v[88:89], -v[100:101]
	v_fma_f64 v[136:137], v[178:179], -0.5, v[82:83]
	v_fma_f64 v[144:145], v[182:183], -0.5, v[82:83]
	;; [unrolled: 1-line block ×3, first 2 shown]
	v_add_f64_e64 v[178:179], v[138:139], -v[172:173]
	v_add_f64_e32 v[243:244], v[243:244], v[174:175]
	v_add_f64_e64 v[80:81], v[138:139], -v[8:9]
	v_add_f64_e64 v[182:183], v[186:187], -v[191:192]
	;; [unrolled: 1-line block ×3, first 2 shown]
	v_add_f64_e32 v[82:83], v[203:204], v[212:213]
	v_add_f64_e32 v[160:161], v[124:125], v[160:161]
	v_add_f64_e64 v[124:125], v[8:9], -v[36:37]
	v_add_f64_e32 v[158:159], v[74:75], v[158:159]
	v_add_f64_e64 v[74:75], v[28:29], -v[4:5]
	v_and_b32_e32 v212, 0xff, v209
	v_add_f64_e32 v[222:223], v[222:223], v[233:234]
	v_add_f64_e32 v[231:232], v[231:232], v[235:236]
	v_fma_f64 v[142:143], v[142:143], -0.5, v[78:79]
	v_add_f64_e64 v[78:79], v[86:87], -v[4:5]
	v_add_f64_e64 v[86:87], v[4:5], -v[28:29]
	s_clause 0x3
	scratch_store_b64 off, v[76:77], off offset:8
	scratch_store_b64 off, v[44:45], off offset:64
	;; [unrolled: 1-line block ×4, first 2 shown]
	v_add_f64_e32 v[70:71], v[148:149], v[102:103]
	v_add_f64_e32 v[102:103], v[92:93], v[188:189]
	;; [unrolled: 1-line block ×3, first 2 shown]
	v_add_f64_e64 v[68:69], v[100:101], -v[30:31]
	v_add_f64_e64 v[76:77], v[88:89], -v[6:7]
	v_fma_f64 v[148:149], v[184:185], -0.5, v[84:85]
	v_add_f64_e64 v[84:85], v[140:141], -v[10:11]
	v_add_f64_e64 v[184:185], v[188:189], -v[193:194]
	v_add_f64_e32 v[18:19], v[160:161], v[18:19]
	v_add_f64_e32 v[16:17], v[158:159], v[16:17]
	v_add_f64_e32 v[74:75], v[108:109], v[74:75]
	v_add_f64_e64 v[108:109], v[26:27], -v[2:3]
	v_add_f64_e32 v[86:87], v[106:107], v[86:87]
	v_add_f64_e64 v[106:107], v[36:37], -v[8:9]
	scratch_store_b64 off, v[70:71], off offset:40 ; 8-byte Folded Spill
	v_add_f64_e32 v[70:71], v[156:157], v[104:105]
	v_fma_f64 v[156:157], v[162:163], -0.5, v[112:113]
	v_fma_f64 v[112:113], v[166:167], -0.5, v[112:113]
	;; [unrolled: 1-line block ×4, first 2 shown]
	v_add_f64_e64 v[104:105], v[100:101], -v[88:89]
	v_add_f64_e32 v[162:163], v[170:171], v[98:99]
	v_add_f64_e32 v[164:165], v[176:177], v[100:101]
	v_add_f64_e64 v[170:171], v[172:173], -v[138:139]
	v_fma_f64 v[168:169], v[245:246], -0.5, v[126:127]
	v_fma_f64 v[100:101], v[249:250], -0.5, v[126:127]
	;; [unrolled: 1-line block ×4, first 2 shown]
	v_add_f64_e64 v[245:246], v[172:173], -v[36:37]
	v_add_f64_e64 v[251:252], v[140:141], -v[174:175]
	v_add_f64_e32 v[247:248], v[225:226], v[172:173]
	v_add_f64_e64 v[172:173], v[174:175], -v[140:141]
	v_add_f64_e64 v[88:89], v[193:194], -v[26:27]
	v_fma_f64 v[126:127], v[253:254], -0.5, v[90:91]
	v_fma_f64 v[138:139], v[210:211], -0.5, v[90:91]
	;; [unrolled: 1-line block ×3, first 2 shown]
	v_add_f64_e64 v[253:254], v[191:192], -v[186:187]
	v_add_f64_e64 v[90:91], v[191:192], -v[24:25]
	v_add_f64_e32 v[46:47], v[102:103], v[193:194]
	v_fma_f64 v[128:129], v[44:45], -0.5, v[92:93]
	v_add_f64_e64 v[92:93], v[188:189], -v[2:3]
	v_add_f64_e32 v[188:189], v[220:221], v[229:230]
	v_lshl_add_u32 v230, v205, 4, 0
	v_add_f64_e64 v[102:103], v[30:31], -v[6:7]
	v_add_nc_u32_e32 v225, 0x1f4, v120
	v_add_nc_u32_e32 v229, 0x384, v120
	v_add_f64_e32 v[44:45], v[195:196], v[197:198]
	v_and_b32_e32 v211, 0xffff, v224
	v_add_f64_e32 v[196:197], v[239:240], v[214:215]
	v_and_b32_e32 v220, 0xffff, v225
	v_and_b32_e32 v221, 0xffff, v121
	v_add_nc_u32_e32 v226, 0x258, v120
	v_mov_b32_e32 v210, v121
	scratch_store_b64 off, v[70:71], off offset:48 ; 8-byte Folded Spill
	v_add_f64_e64 v[70:71], v[174:175], -v[38:39]
	v_add_f64_e32 v[174:175], v[94:95], v[191:192]
	s_clause 0x1
	scratch_load_b64 v[191:192], off, off th:TH_LOAD_LU
	scratch_load_b64 v[193:194], off, off offset:56 th:TH_LOAD_LU
	v_add_f64_e64 v[94:95], v[186:187], -v[0:1]
	v_add_f64_e32 v[186:187], v[216:217], v[227:228]
	v_add_nc_u32_e32 v227, 0x2bc, v120
	v_add_nc_u32_e32 v228, 0x320, v120
	scratch_store_b32 off, v221, off        ; 4-byte Folded Spill
	v_add_f64_e64 v[216:217], v[10:11], -v[38:39]
	v_add_f64_e32 v[108:109], v[180:181], v[108:109]
	v_and_b32_e32 v214, 0xffff, v227
	v_add_f64_e64 v[176:177], v[6:7], -v[30:31]
	v_add_f64_e32 v[28:29], v[162:163], v[28:29]
	v_add_f64_e32 v[30:31], v[164:165], v[30:31]
	;; [unrolled: 1-line block ×4, first 2 shown]
	v_fma_f64 v[170:171], v[52:53], s[4:5], v[146:147]
	v_fma_f64 v[146:147], v[52:53], s[12:13], v[146:147]
	;; [unrolled: 1-line block ×11, first 2 shown]
	v_add_f64_e32 v[102:103], v[104:105], v[102:103]
	v_and_b32_e32 v104, 0xffff, v228
	v_and_b32_e32 v105, 0xffff, v229
	scratch_load_b64 v[180:181], off, off offset:16 th:TH_LOAD_LU ; 8-byte Folded Reload
	v_mul_u32_u24_e32 v104, 0xcccd, v104
	v_mul_u32_u24_e32 v105, 0xcccd, v105
	v_add_f64_e32 v[28:29], v[28:29], v[4:5]
	v_add_f64_e32 v[30:31], v[30:31], v[6:7]
	v_fma_f64 v[4:5], v[90:91], s[4:5], v[140:141]
	v_fma_f64 v[6:7], v[88:89], s[12:13], v[138:139]
	v_add_f64_e32 v[36:37], v[36:37], v[8:9]
	v_fma_f64 v[8:9], v[70:71], s[12:13], v[100:101]
	v_fma_f64 v[100:101], v[70:71], s[4:5], v[100:101]
	;; [unrolled: 1-line block ×3, first 2 shown]
	s_wait_alu 0xfffe
	v_fma_f64 v[160:161], v[66:67], s[10:11], v[160:161]
	v_fma_f64 v[64:65], v[64:65], s[10:11], v[112:113]
	;; [unrolled: 1-line block ×3, first 2 shown]
	s_wait_loadcnt 0x1
	v_add_f64_e32 v[204:205], v[191:192], v[193:194]
	scratch_load_b64 v[191:192], off, off offset:64 th:TH_LOAD_LU ; 8-byte Folded Reload
	v_mul_lo_u16 v194, 0xcd, v190
	s_delay_alu instid0(VALU_DEP_1)
	v_lshrrev_b16 v213, 11, v194
	v_add_f64_e32 v[194:195], v[178:179], v[124:125]
	v_mul_u32_u24_e32 v179, 0xcccd, v211
	v_mul_u32_u24_e32 v211, 0xcccd, v220
	;; [unrolled: 1-line block ×4, first 2 shown]
	v_lshrrev_b32_e32 v221, 19, v105
	v_lshrrev_b32_e32 v214, 19, v179
	v_mul_lo_u16 v124, 0xcd, v212
	v_mul_lo_u16 v233, v213, 10
	s_delay_alu instid0(VALU_DEP_3) | instskip(NEXT) | instid1(VALU_DEP_3)
	v_mul_lo_u16 v121, v214, 10
	v_lshrrev_b16 v215, 11, v124
	s_delay_alu instid0(VALU_DEP_3)
	v_sub_nc_u16 v124, v120, v233
	v_fma_f64 v[233:234], v[78:79], s[12:13], v[132:133]
	v_fma_f64 v[132:133], v[78:79], s[4:5], v[132:133]
	s_wait_loadcnt 0x1
	v_fma_f64 v[164:165], v[50:51], s[12:13], v[180:181]
	v_fma_f64 v[180:181], v[50:51], s[4:5], v[180:181]
	s_wait_loadcnt 0x0
	v_add_f64_e32 v[202:203], v[191:192], v[201:202]
	v_add_f64_e32 v[192:193], v[206:207], v[154:155]
	v_add_f64_e64 v[154:155], v[0:1], -v[24:25]
	v_add_f64_e32 v[190:191], v[237:238], v[199:200]
	v_add_f64_e32 v[198:199], v[218:219], v[110:111]
	v_lshrrev_b32_e32 v218, 19, v211
	v_lshrrev_b32_e32 v211, 19, v220
	;; [unrolled: 1-line block ×3, first 2 shown]
	v_and_b32_e32 v201, 0xffff, v255
	v_and_b32_e32 v200, 0xffff, v226
	v_add_f64_e32 v[206:207], v[96:97], v[176:177]
	v_add_f64_e64 v[96:97], v[2:3], -v[26:27]
	v_add_f64_e64 v[176:177], v[38:39], -v[10:11]
	v_mul_u32_u24_e32 v178, 0xcccd, v201
	v_mul_u32_u24_e32 v219, 0xcccd, v200
	v_add_f64_e32 v[200:201], v[251:252], v[216:217]
	v_add_f64_e32 v[38:39], v[243:244], v[38:39]
	v_add_f64_e64 v[110:111], v[24:25], -v[0:1]
	v_lshrrev_b32_e32 v217, 19, v178
	scratch_load_b64 v[178:179], off, off offset:8 th:TH_LOAD_LU ; 8-byte Folded Reload
	v_add_f64_e32 v[24:25], v[174:175], v[24:25]
	v_add_f64_e32 v[26:27], v[46:47], v[26:27]
	v_fma_f64 v[46:47], v[60:61], s[4:5], v[134:135]
	v_lshrrev_b32_e32 v216, 19, v125
	v_fma_f64 v[134:135], v[60:61], s[12:13], v[134:135]
	v_fma_f64 v[243:244], v[68:69], s[12:13], v[144:145]
	;; [unrolled: 1-line block ×9, first 2 shown]
	v_mul_lo_u16 v251, v215, 10
	v_mul_lo_u16 v252, v216, 10
	v_lshrrev_b32_e32 v219, 19, v219
	v_add_f64_e32 v[104:105], v[182:183], v[154:155]
	scratch_load_b64 v[154:155], off, off offset:24 th:TH_LOAD_LU ; 8-byte Folded Reload
	v_mul_lo_u16 v182, v217, 10
	v_add_f64_e32 v[96:97], v[184:185], v[96:97]
	v_and_b32_e32 v185, 0xff, v124
	v_add_f64_e32 v[124:125], v[172:173], v[176:177]
	v_fma_f64 v[176:177], v[56:57], s[12:13], v[142:143]
	v_fma_f64 v[142:143], v[56:57], s[4:5], v[142:143]
	;; [unrolled: 1-line block ×6, first 2 shown]
	v_add_f64_e32 v[38:39], v[38:39], v[10:11]
	v_fma_f64 v[10:11], v[88:89], s[4:5], v[138:139]
	v_fma_f64 v[138:139], v[90:91], s[12:13], v[140:141]
	v_add_f64_e32 v[24:25], v[24:25], v[0:1]
	v_fma_f64 v[0:1], v[56:57], s[0:1], v[46:47]
	v_add_f64_e32 v[26:27], v[26:27], v[2:3]
	;; [unrolled: 2-line block ×3, first 2 shown]
	v_fma_f64 v[140:141], v[245:246], s[4:5], v[249:250]
	v_fma_f64 v[2:3], v[60:61], s[0:1], v[176:177]
	;; [unrolled: 1-line block ×13, first 2 shown]
	s_wait_loadcnt 0x1
	v_fma_f64 v[162:163], v[48:49], s[4:5], v[178:179]
	v_fma_f64 v[178:179], v[48:49], s[12:13], v[178:179]
	;; [unrolled: 1-line block ×5, first 2 shown]
	s_wait_loadcnt 0x0
	v_add_f64_e32 v[32:33], v[154:155], v[32:33]
	scratch_load_b64 v[154:155], off, off offset:32 th:TH_LOAD_LU ; 8-byte Folded Reload
	v_fma_f64 v[118:119], v[152:153], s[0:1], v[162:163]
	v_fma_f64 v[134:135], v[152:153], s[10:11], v[178:179]
	;; [unrolled: 1-line block ×9, first 2 shown]
	v_mul_u32_u24_e32 v233, 0x1e0, v221
	v_add_f64_e32 v[12:13], v[32:33], v[12:13]
	v_fma_f64 v[32:33], v[92:93], s[4:5], v[126:127]
	v_fma_f64 v[126:127], v[92:93], s[12:13], v[126:127]
	;; [unrolled: 1-line block ×6, first 2 shown]
	v_add_f64_e64 v[4:5], v[16:17], -v[12:13]
	v_fma_f64 v[32:33], v[88:89], s[0:1], v[32:33]
	v_fma_f64 v[88:89], v[88:89], s[10:11], v[126:127]
	;; [unrolled: 1-line block ×3, first 2 shown]
	v_add_f64_e32 v[0:1], v[16:17], v[12:13]
	v_add_f64_e32 v[16:17], v[36:37], v[24:25]
	v_fma_f64 v[32:33], v[104:105], s[14:15], v[32:33]
	v_fma_f64 v[88:89], v[104:105], s[14:15], v[88:89]
	v_mul_f64_e32 v[104:105], s[14:15], v[46:47]
	s_delay_alu instid0(VALU_DEP_2)
	v_mul_f64_e32 v[166:167], s[16:17], v[88:89]
	s_wait_loadcnt 0x0
	v_add_f64_e32 v[34:35], v[154:155], v[34:35]
	scratch_load_b64 v[154:155], off, off offset:40 th:TH_LOAD_LU ; 8-byte Folded Reload
	v_add_f64_e32 v[14:15], v[34:35], v[14:15]
	v_fma_f64 v[34:35], v[94:95], s[12:13], v[128:129]
	v_fma_f64 v[128:129], v[94:95], s[4:5], v[128:129]
	;; [unrolled: 1-line block ×5, first 2 shown]
	v_add_f64_e64 v[6:7], v[18:19], -v[14:15]
	v_fma_f64 v[34:35], v[90:91], s[10:11], v[34:35]
	v_fma_f64 v[90:91], v[90:91], s[0:1], v[128:129]
	;; [unrolled: 1-line block ×3, first 2 shown]
	v_mul_f64_e32 v[140:141], s[12:13], v[138:139]
	s_delay_alu instid0(VALU_DEP_4) | instskip(NEXT) | instid1(VALU_DEP_4)
	v_fma_f64 v[34:35], v[96:97], s[14:15], v[34:35]
	v_fma_f64 v[90:91], v[96:97], s[14:15], v[90:91]
	s_wait_loadcnt 0x0
	v_add_f64_e32 v[40:41], v[154:155], v[40:41]
	scratch_load_b64 v[154:155], off, off offset:48 th:TH_LOAD_LU ; 8-byte Folded Reload
	global_wb scope:SCOPE_SE
	s_wait_loadcnt 0x0
	s_wait_storecnt 0x0
	s_barrier_signal -1
	s_barrier_wait -1
	global_inv scope:SCOPE_SE
	v_add_f64_e32 v[20:21], v[40:41], v[20:21]
	v_fma_f64 v[40:41], v[84:85], s[4:5], v[168:169]
	v_fma_f64 v[168:169], v[84:85], s[12:13], v[168:169]
	;; [unrolled: 1-line block ×4, first 2 shown]
	v_add_f64_e32 v[2:3], v[18:19], v[14:15]
	v_add_f64_e32 v[18:19], v[38:39], v[26:27]
	;; [unrolled: 1-line block ×3, first 2 shown]
	v_add_f64_e64 v[12:13], v[20:21], -v[28:29]
	v_fma_f64 v[28:29], v[74:75], s[14:15], v[76:77]
	v_fma_f64 v[76:77], v[108:109], s[14:15], v[112:113]
	v_add_f64_e64 v[20:21], v[36:37], -v[24:25]
	v_mul_f64_e32 v[24:25], s[4:5], v[60:61]
	v_fma_f64 v[112:113], v[202:203], s[14:15], v[116:117]
	v_fma_f64 v[36:37], v[44:45], s[14:15], v[118:119]
	;; [unrolled: 1-line block ×4, first 2 shown]
	v_mul_f64_e32 v[152:153], s[16:17], v[32:33]
	v_mul_f64_e32 v[32:33], s[10:11], v[32:33]
	v_fma_f64 v[70:71], v[70:71], s[10:11], v[168:169]
	v_mul_f64_e32 v[168:169], s[16:17], v[90:91]
	v_mul_f64_e32 v[144:145], s[14:15], v[28:29]
	v_add_f64_e32 v[42:43], v[154:155], v[42:43]
	v_fma_f64 v[154:155], v[62:63], s[12:13], v[130:131]
	v_fma_f64 v[130:131], v[62:63], s[4:5], v[130:131]
	;; [unrolled: 1-line block ×4, first 2 shown]
	v_add_f64_e32 v[22:23], v[42:43], v[22:23]
	v_fma_f64 v[150:151], v[52:53], s[10:11], v[154:155]
	v_fma_f64 v[52:53], v[52:53], s[0:1], v[130:131]
	;; [unrolled: 1-line block ×11, first 2 shown]
	v_add_f64_e32 v[10:11], v[22:23], v[30:31]
	v_add_f64_e64 v[14:15], v[22:23], -v[30:31]
	v_fma_f64 v[52:53], v[188:189], s[14:15], v[52:53]
	v_fma_f64 v[130:131], v[86:87], s[14:15], v[130:131]
	;; [unrolled: 1-line block ×8, first 2 shown]
	v_mul_f64_e32 v[94:95], s[16:17], v[126:127]
	v_mul_f64_e32 v[102:103], s[10:11], v[126:127]
	v_add_f64_e64 v[22:23], v[38:39], -v[26:27]
	v_mul_f64_e32 v[26:27], s[12:13], v[100:101]
	v_mul_f64_e32 v[108:109], s[14:15], v[62:63]
	;; [unrolled: 1-line block ×4, first 2 shown]
	v_fma_f64 v[38:39], v[82:83], s[14:15], v[142:143]
	v_fma_f64 v[82:83], v[82:83], s[14:15], v[146:147]
	;; [unrolled: 1-line block ×3, first 2 shown]
	v_mul_f64_e32 v[150:151], s[16:17], v[72:73]
	v_fma_f64 v[42:43], v[245:246], s[10:11], v[42:43]
	v_fma_f64 v[142:143], v[190:191], s[14:15], v[154:155]
	v_mul_f64_e32 v[154:155], s[4:5], v[76:77]
	v_fma_f64 v[110:111], v[204:205], s[14:15], v[172:173]
	v_fma_f64 v[100:101], v[100:101], s[14:15], v[24:25]
	v_fma_f64 v[62:63], v[62:63], s[4:5], -v[104:105]
	v_fma_f64 v[104:105], v[190:191], s[14:15], v[54:55]
	v_mul_f64_e32 v[116:117], s[16:17], v[52:53]
	v_mul_f64_e32 v[126:127], s[16:17], v[130:131]
	;; [unrolled: 1-line block ×8, first 2 shown]
	v_fma_f64 v[94:95], v[74:75], s[0:1], v[94:95]
	v_fma_f64 v[74:75], v[74:75], s[16:17], v[102:103]
	;; [unrolled: 1-line block ×4, first 2 shown]
	v_fma_f64 v[46:47], v[46:47], s[12:13], -v[108:109]
	v_fma_f64 v[52:53], v[52:53], s[0:1], -v[114:115]
	v_fma_f64 v[158:159], v[198:199], s[14:15], v[160:161]
	v_fma_f64 v[160:161], v[196:197], s[14:15], v[64:65]
	;; [unrolled: 1-line block ×4, first 2 shown]
	v_add_f64_e32 v[40:41], v[48:49], v[62:63]
	v_fma_f64 v[54:55], v[56:57], s[10:11], -v[116:117]
	v_fma_f64 v[64:65], v[118:119], s[0:1], v[126:127]
	v_fma_f64 v[66:67], v[118:119], s[16:17], v[130:131]
	;; [unrolled: 1-line block ×8, first 2 shown]
	v_fma_f64 v[80:81], v[30:31], s[4:5], -v[144:145]
	v_fma_f64 v[84:85], v[28:29], s[12:13], -v[146:147]
	v_fma_f64 v[138:139], v[200:201], s[14:15], v[98:99]
	v_fma_f64 v[96:97], v[72:73], s[0:1], -v[96:97]
	v_fma_f64 v[98:99], v[68:69], s[10:11], -v[150:151]
	v_fma_f64 v[116:117], v[200:201], s[14:15], v[42:43]
	v_fma_f64 v[106:107], v[34:35], s[0:1], v[152:153]
	;; [unrolled: 1-line block ×5, first 2 shown]
	v_fma_f64 v[150:151], v[92:93], s[4:5], -v[162:163]
	v_fma_f64 v[152:153], v[86:87], s[12:13], -v[164:165]
	v_fma_f64 v[136:137], v[194:195], s[14:15], v[70:71]
	v_fma_f64 v[154:155], v[90:91], s[0:1], -v[166:167]
	v_fma_f64 v[156:157], v[88:89], s[10:11], -v[168:169]
	v_add_f64_e32 v[24:25], v[36:37], v[94:95]
	v_add_f64_e32 v[26:27], v[38:39], v[74:75]
	v_add_f64_e32 v[32:33], v[110:111], v[100:101]
	v_add_f64_e32 v[34:35], v[112:113], v[60:61]
	v_add_f64_e32 v[42:43], v[50:51], v[46:47]
	v_add_f64_e64 v[44:45], v[48:49], -v[62:63]
	v_add_f64_e64 v[46:47], v[50:51], -v[46:47]
	v_add_f64_e32 v[48:49], v[134:135], v[52:53]
	v_add_f64_e64 v[28:29], v[36:37], -v[94:95]
	v_add_f64_e64 v[30:31], v[38:39], -v[74:75]
	;; [unrolled: 1-line block ×5, first 2 shown]
	v_add_f64_e32 v[50:51], v[82:83], v[54:55]
	v_add_f64_e64 v[54:55], v[82:83], -v[54:55]
	v_add_f64_e32 v[56:57], v[142:143], v[64:65]
	v_add_f64_e32 v[58:59], v[148:149], v[66:67]
	v_add_f64_e64 v[60:61], v[142:143], -v[64:65]
	v_add_f64_e64 v[62:63], v[148:149], -v[66:67]
	v_add_f64_e32 v[64:65], v[102:103], v[128:129]
	v_add_f64_e32 v[66:67], v[158:159], v[130:131]
	v_add_f64_e64 v[68:69], v[102:103], -v[128:129]
	v_add_f64_e32 v[72:73], v[160:161], v[80:81]
	v_add_f64_e32 v[74:75], v[170:171], v[84:85]
	;; [unrolled: 3-line block ×3, first 2 shown]
	v_add_f64_e64 v[70:71], v[158:159], -v[130:131]
	v_add_f64_e64 v[78:79], v[170:171], -v[84:85]
	;; [unrolled: 1-line block ×4, first 2 shown]
	v_add_f64_e32 v[88:89], v[114:115], v[106:107]
	v_add_f64_e32 v[90:91], v[116:117], v[140:141]
	;; [unrolled: 1-line block ×4, first 2 shown]
	v_add_f64_e64 v[92:93], v[114:115], -v[106:107]
	v_add_f64_e32 v[104:105], v[132:133], v[150:151]
	v_add_f64_e32 v[106:107], v[124:125], v[152:153]
	;; [unrolled: 1-line block ×4, first 2 shown]
	v_add_f64_e64 v[94:95], v[116:117], -v[140:141]
	v_add_f64_e64 v[100:101], v[118:119], -v[144:145]
	;; [unrolled: 1-line block ×7, first 2 shown]
	v_sub_nc_u16 v126, v209, v251
	v_lshlrev_b32_e32 v127, 5, v185
	ds_store_b128 v230, v[0:3]
	ds_store_b128 v230, v[24:27] offset:16
	ds_store_b128 v230, v[32:35] offset:32
	;; [unrolled: 1-line block ×29, first 2 shown]
	v_and_b32_e32 v80, 0xff, v126
	global_wb scope:SCOPE_SE
	s_wait_dscnt 0x0
	s_barrier_signal -1
	s_barrier_wait -1
	global_inv scope:SCOPE_SE
	global_load_b128 v[0:3], v127, s[8:9]
	v_lshlrev_b32_e32 v6, 5, v80
	global_load_b128 v[64:67], v127, s[8:9] offset:16
	v_mul_lo_u16 v124, v218, 10
	v_sub_nc_u16 v5, v210, v252
	v_sub_nc_u16 v7, v255, v182
	s_clause 0x1
	global_load_b128 v[72:75], v6, s[8:9]
	global_load_b128 v[68:71], v6, s[8:9] offset:16
	v_mul_lo_u16 v125, v219, 10
	v_and_b32_e32 v81, 0xffff, v5
	v_sub_nc_u16 v5, v225, v124
	v_sub_nc_u16 v8, v224, v121
	v_mul_lo_u16 v4, v211, 10
	v_and_b32_e32 v82, 0xffff, v7
	v_lshlrev_b32_e32 v7, 5, v81
	v_and_b32_e32 v84, 0xffff, v5
	v_sub_nc_u16 v9, v226, v125
	v_and_b32_e32 v83, 0xffff, v8
	v_mul_lo_u16 v16, v220, 10
	global_load_b128 v[60:63], v7, s[8:9]
	v_sub_nc_u16 v12, v227, v4
	v_lshlrev_b32_e32 v4, 5, v82
	v_lshlrev_b32_e32 v17, 5, v84
	global_load_b128 v[52:55], v7, s[8:9] offset:16
	v_mul_lo_u16 v32, v221, 10
	v_lshlrev_b32_e32 v13, 5, v83
	v_and_b32_e32 v85, 0xffff, v9
	global_load_b128 v[20:23], v17, s[8:9]
	v_sub_nc_u16 v34, v228, v16
	s_clause 0x2
	global_load_b128 v[28:31], v4, s[8:9]
	global_load_b128 v[4:7], v4, s[8:9] offset:16
	global_load_b128 v[8:11], v13, s[8:9]
	v_and_b32_e32 v86, 0xffff, v12
	global_load_b128 v[12:15], v13, s[8:9] offset:16
	v_lshlrev_b32_e32 v33, 5, v85
	v_sub_nc_u16 v41, v229, v32
	v_and_b32_e32 v87, 0xffff, v34
	v_lshlrev_b32_e32 v40, 5, v86
	s_clause 0x3
	global_load_b128 v[16:19], v17, s[8:9] offset:16
	global_load_b128 v[24:27], v33, s[8:9]
	global_load_b128 v[32:35], v33, s[8:9] offset:16
	global_load_b128 v[36:39], v40, s[8:9]
	v_and_b32_e32 v88, 0xffff, v41
	v_lshlrev_b32_e32 v42, 5, v87
	s_clause 0x1
	global_load_b128 v[48:51], v40, s[8:9] offset:16
	global_load_b128 v[44:47], v42, s[8:9]
	v_lshlrev_b32_e32 v76, 5, v88
	s_clause 0x2
	global_load_b128 v[40:43], v42, s[8:9] offset:16
	global_load_b128 v[56:59], v76, s[8:9]
	global_load_b128 v[76:79], v76, s[8:9] offset:16
	v_and_b32_e32 v89, 0xff, v120
	v_lshlrev_b32_e32 v97, 4, v82
	v_lshlrev_b32_e32 v98, 4, v83
	;; [unrolled: 1-line block ×4, first 2 shown]
	v_mul_lo_u16 v89, 0x89, v89
	v_lshlrev_b32_e32 v236, 4, v86
	v_lshlrev_b32_e32 v237, 4, v87
	;; [unrolled: 1-line block ×3, first 2 shown]
	ds_load_b128 v[85:88], v208 offset:32000
	v_lshrrev_b16 v127, 12, v89
	v_and_b32_e32 v89, 0xffff, v213
	v_and_b32_e32 v91, 0xffff, v215
	v_mul_u32_u24_e32 v92, 0x1e0, v216
	v_mul_u32_u24_e32 v93, 0x1e0, v217
	v_mul_lo_u16 v90, v127, 30
	v_mul_u32_u24_e32 v89, 0x1e0, v89
	v_mul_u32_u24_e32 v94, 0x1e0, v214
	;; [unrolled: 1-line block ×4, first 2 shown]
	v_sub_nc_u16 v90, v120, v90
	v_add3_u32 v243, 0, v93, v97
	v_add3_u32 v244, 0, v94, v98
	;; [unrolled: 1-line block ×3, first 2 shown]
	v_mul_u32_u24_e32 v119, 0x1e0, v219
	v_and_b32_e32 v126, 0xff, v90
	v_lshlrev_b32_e32 v90, 4, v185
	v_mul_u32_u24_e32 v121, 0x1e0, v211
	v_mul_u32_u24_e32 v211, 0x1e0, v220
	v_and_b32_e32 v127, 0xffff, v127
	v_mul_u32_u24_e32 v96, 9, v126
	v_add3_u32 v234, 0, v89, v90
	v_lshlrev_b32_e32 v90, 4, v81
	ds_load_b128 v[81:84], v208 offset:16000
	v_lshlrev_b32_e32 v89, 4, v80
	v_lshlrev_b32_e32 v80, 4, v96
	v_add3_u32 v240, 0, v92, v90
	s_delay_alu instid0(VALU_DEP_3)
	v_add3_u32 v239, 0, v91, v89
	ds_load_b128 v[89:92], v208 offset:14400
	ds_load_b128 v[93:96], v208 offset:17600
	;; [unrolled: 1-line block ×19, first 2 shown]
	ds_load_b128 v[176:179], v208
	ds_load_b128 v[180:183], v208 offset:1600
	ds_load_b128 v[184:187], v208 offset:3200
	s_wait_loadcnt_dscnt 0x1316
	v_mul_f64_e32 v[117:118], v[83:84], v[2:3]
	v_mul_f64_e32 v[2:3], v[81:82], v[2:3]
	s_wait_loadcnt 0x12
	v_mul_f64_e32 v[124:125], v[87:88], v[66:67]
	v_mul_f64_e32 v[66:67], v[85:86], v[66:67]
	s_wait_loadcnt_dscnt 0x1114
	v_mul_f64_e32 v[188:189], v[95:96], v[74:75]
	v_mul_f64_e32 v[74:75], v[93:94], v[74:75]
	s_wait_loadcnt_dscnt 0x1011
	v_mul_f64_e32 v[190:191], v[107:108], v[70:71]
	v_mul_f64_e32 v[70:71], v[105:106], v[70:71]
	s_wait_loadcnt 0xf
	v_mul_f64_e32 v[192:193], v[99:100], v[62:63]
	v_mul_f64_e32 v[62:63], v[97:98], v[62:63]
	s_wait_loadcnt_dscnt 0xe10
	v_mul_f64_e32 v[194:195], v[111:112], v[54:55]
	v_mul_f64_e32 v[54:55], v[109:110], v[54:55]
	s_wait_loadcnt_dscnt 0xd0b
	v_mul_f64_e32 v[204:205], v[142:143], v[22:23]
	v_mul_f64_e32 v[22:23], v[140:141], v[22:23]
	s_wait_loadcnt 0xc
	v_mul_f64_e32 v[196:197], v[115:116], v[30:31]
	v_mul_f64_e32 v[30:31], v[113:114], v[30:31]
	s_wait_loadcnt 0xb
	;; [unrolled: 3-line block ×4, first 2 shown]
	v_mul_f64_e32 v[202:203], v[138:139], v[14:15]
	v_mul_f64_e32 v[14:15], v[136:137], v[14:15]
	s_wait_loadcnt_dscnt 0x809
	v_mul_f64_e32 v[206:207], v[150:151], v[18:19]
	v_mul_f64_e32 v[18:19], v[148:149], v[18:19]
	s_wait_loadcnt 0x7
	v_mul_f64_e32 v[213:214], v[146:147], v[26:27]
	v_mul_f64_e32 v[215:216], v[144:145], v[26:27]
	v_fma_f64 v[81:82], v[81:82], v[0:1], -v[117:118]
	s_wait_loadcnt_dscnt 0x608
	v_mul_f64_e32 v[117:118], v[154:155], v[34:35]
	v_mul_f64_e32 v[34:35], v[152:153], v[34:35]
	s_wait_loadcnt_dscnt 0x507
	v_mul_f64_e32 v[217:218], v[158:159], v[38:39]
	v_mul_f64_e32 v[38:39], v[156:157], v[38:39]
	v_fma_f64 v[85:86], v[85:86], v[64:65], -v[124:125]
	s_wait_loadcnt_dscnt 0x405
	v_mul_f64_e32 v[124:125], v[166:167], v[50:51]
	v_mul_f64_e32 v[219:220], v[164:165], v[50:51]
	s_wait_loadcnt 0x3
	v_mul_f64_e32 v[221:222], v[162:163], v[46:47]
	v_mul_f64_e32 v[46:47], v[160:161], v[46:47]
	v_fma_f64 v[93:94], v[93:94], v[72:73], -v[188:189]
	v_fma_f64 v[72:73], v[95:96], v[72:73], v[74:75]
	s_wait_loadcnt_dscnt 0x204
	v_mul_f64_e32 v[74:75], v[170:171], v[42:43]
	v_mul_f64_e32 v[42:43], v[168:169], v[42:43]
	s_wait_loadcnt 0x1
	v_mul_f64_e32 v[95:96], v[103:104], v[58:59]
	v_mul_f64_e32 v[188:189], v[101:102], v[58:59]
	v_fma_f64 v[70:71], v[107:108], v[68:69], v[70:71]
	s_wait_loadcnt_dscnt 0x3
	v_mul_f64_e32 v[107:108], v[174:175], v[78:79]
	v_mul_f64_e32 v[78:79], v[172:173], v[78:79]
	v_fma_f64 v[83:84], v[83:84], v[0:1], v[2:3]
	v_fma_f64 v[87:88], v[87:88], v[64:65], v[66:67]
	v_fma_f64 v[105:106], v[105:106], v[68:69], -v[190:191]
	v_fma_f64 v[97:98], v[97:98], v[60:61], -v[192:193]
	v_fma_f64 v[99:100], v[99:100], v[60:61], v[62:63]
	v_fma_f64 v[109:110], v[109:110], v[52:53], -v[194:195]
	v_fma_f64 v[54:55], v[111:112], v[52:53], v[54:55]
	;; [unrolled: 2-line block ×13, first 2 shown]
	ds_load_b128 v[0:3], v208 offset:4800
	ds_load_b128 v[58:61], v208 offset:6400
	s_wait_dscnt 0x3
	v_add_f64_e32 v[117:118], v[182:183], v[72:73]
	v_fma_f64 v[46:47], v[168:169], v[40:41], -v[74:75]
	v_fma_f64 v[40:41], v[170:171], v[40:41], v[42:43]
	v_fma_f64 v[42:43], v[101:102], v[56:57], -v[95:96]
	v_fma_f64 v[48:49], v[103:104], v[56:57], v[188:189]
	v_add_f64_e32 v[101:102], v[176:177], v[81:82]
	v_fma_f64 v[56:57], v[172:173], v[76:77], -v[107:108]
	v_fma_f64 v[74:75], v[174:175], v[76:77], v[78:79]
	v_add_f64_e32 v[76:77], v[81:82], v[85:86]
	v_add_f64_e32 v[78:79], v[83:84], v[87:88]
	;; [unrolled: 1-line block ×7, first 2 shown]
	ds_load_b128 v[50:53], v208 offset:8000
	ds_load_b128 v[62:65], v208 offset:9600
	;; [unrolled: 1-line block ×4, first 2 shown]
	v_add_f64_e32 v[140:141], v[111:112], v[113:114]
	v_add_f64_e32 v[142:143], v[30:31], v[115:116]
	;; [unrolled: 1-line block ×3, first 2 shown]
	s_wait_dscnt 0x5
	v_add_f64_e32 v[144:145], v[2:3], v[30:31]
	v_add_f64_e64 v[148:149], v[30:31], -v[115:116]
	v_add_f64_e32 v[30:31], v[4:5], v[128:129]
	v_add_f64_e32 v[150:151], v[6:7], v[130:131]
	;; [unrolled: 1-line block ×6, first 2 shown]
	s_wait_dscnt 0x4
	v_add_f64_e32 v[154:155], v[58:59], v[4:5]
	v_add_f64_e32 v[172:173], v[12:13], v[24:25]
	;; [unrolled: 1-line block ×4, first 2 shown]
	v_add_f64_e64 v[83:84], v[83:84], -v[87:88]
	v_add_f64_e32 v[196:197], v[16:17], v[34:35]
	v_add_f64_e32 v[198:199], v[18:19], v[36:37]
	v_add_f64_e64 v[81:82], v[81:82], -v[85:86]
	s_wait_dscnt 0x0
	v_add_f64_e32 v[217:218], v[68:69], v[44:45]
	v_add_f64_e32 v[219:220], v[66:67], v[38:39]
	;; [unrolled: 1-line block ×5, first 2 shown]
	v_add_f64_e64 v[221:222], v[44:45], -v[40:41]
	v_add_f64_e64 v[223:224], v[38:39], -v[46:47]
	v_add_f64_e32 v[225:226], v[91:92], v[48:49]
	v_add_f64_e32 v[38:39], v[42:43], v[56:57]
	;; [unrolled: 1-line block ×3, first 2 shown]
	v_add_f64_e64 v[229:230], v[48:49], -v[74:75]
	v_fma_f64 v[48:49], v[76:77], -0.5, v[176:177]
	v_fma_f64 v[76:77], v[78:79], -0.5, v[178:179]
	v_add_f64_e32 v[202:203], v[26:27], v[16:17]
	v_add_f64_e64 v[72:73], v[72:73], -v[70:71]
	v_add_f64_e64 v[93:94], v[93:94], -v[105:106]
	;; [unrolled: 1-line block ×3, first 2 shown]
	v_add_f64_e32 v[4:5], v[101:102], v[85:86]
	v_fma_f64 v[78:79], v[103:104], -0.5, v[180:181]
	v_fma_f64 v[85:86], v[107:108], -0.5, v[182:183]
	v_add_f64_e32 v[136:137], v[186:187], v[99:100]
	v_add_f64_e32 v[227:228], v[89:90], v[42:43]
	v_add_f64_e64 v[99:100], v[99:100], -v[54:55]
	v_add_f64_e64 v[97:98], v[97:98], -v[109:110]
	;; [unrolled: 1-line block ×3, first 2 shown]
	v_add_f64_e32 v[164:165], v[52:53], v[10:11]
	v_add_f64_e64 v[168:169], v[10:11], -v[22:23]
	v_add_f64_e32 v[6:7], v[95:96], v[87:88]
	v_add_f64_e32 v[10:11], v[117:118], v[70:71]
	v_fma_f64 v[70:71], v[132:133], -0.5, v[184:185]
	v_fma_f64 v[87:88], v[134:135], -0.5, v[186:187]
	v_add_f64_e64 v[111:112], v[111:112], -v[113:114]
	v_fma_f64 v[95:96], v[140:141], -0.5, v[0:1]
	v_fma_f64 v[101:102], v[142:143], -0.5, v[2:3]
	v_add_f64_e32 v[166:167], v[50:51], v[8:9]
	v_add_f64_e64 v[170:171], v[8:9], -v[20:21]
	v_add_f64_e32 v[200:201], v[28:29], v[18:19]
	v_add_f64_e32 v[8:9], v[124:125], v[105:106]
	v_fma_f64 v[103:104], v[30:31], -0.5, v[58:59]
	v_fma_f64 v[105:106], v[150:151], -0.5, v[60:61]
	v_add_f64_e64 v[194:195], v[12:13], -v[24:25]
	v_add_f64_e32 v[12:13], v[138:139], v[109:110]
	v_fma_f64 v[107:108], v[160:161], -0.5, v[50:51]
	v_fma_f64 v[109:110], v[162:163], -0.5, v[52:53]
	v_add_f64_e32 v[188:189], v[64:65], v[14:15]
	v_add_f64_e64 v[192:193], v[14:15], -v[32:33]
	v_add_f64_e32 v[2:3], v[144:145], v[115:116]
	v_add_f64_e32 v[0:1], v[146:147], v[113:114]
	v_fma_f64 v[113:114], v[172:173], -0.5, v[62:63]
	v_fma_f64 v[115:116], v[174:175], -0.5, v[64:65]
	v_add_f64_e64 v[204:205], v[18:19], -v[36:37]
	v_add_f64_e64 v[206:207], v[16:17], -v[34:35]
	v_fma_f64 v[117:118], v[196:197], -0.5, v[26:27]
	v_fma_f64 v[28:29], v[198:199], -0.5, v[28:29]
	v_add_f64_e32 v[16:17], v[154:155], v[128:129]
	v_fma_f64 v[124:125], v[213:214], -0.5, v[66:67]
	v_fma_f64 v[128:129], v[215:216], -0.5, v[68:69]
	v_add_f64_e64 v[231:232], v[42:43], -v[56:57]
	v_add_f64_e32 v[18:19], v[152:153], v[130:131]
	v_fma_f64 v[130:131], v[38:39], -0.5, v[89:90]
	v_fma_f64 v[134:135], v[44:45], -0.5, v[91:92]
	v_fma_f64 v[42:43], v[83:84], s[18:19], v[48:49]
	v_fma_f64 v[44:45], v[81:82], s[20:21], v[76:77]
	v_add_f64_e32 v[30:31], v[190:191], v[24:25]
	v_add_f64_e32 v[24:25], v[202:203], v[34:35]
	;; [unrolled: 1-line block ×3, first 2 shown]
	v_fma_f64 v[46:47], v[83:84], s[20:21], v[48:49]
	v_fma_f64 v[48:49], v[81:82], s[18:19], v[76:77]
	;; [unrolled: 1-line block ×4, first 2 shown]
	v_add_f64_e32 v[14:15], v[136:137], v[54:55]
	v_add_f64_e32 v[38:39], v[227:228], v[56:57]
	v_fma_f64 v[54:55], v[72:73], s[20:21], v[78:79]
	v_fma_f64 v[56:57], v[93:94], s[18:19], v[85:86]
	;; [unrolled: 1-line block ×10, first 2 shown]
	v_add_f64_e32 v[26:27], v[200:201], v[36:37]
	v_add_f64_e32 v[36:37], v[217:218], v[40:41]
	;; [unrolled: 1-line block ×3, first 2 shown]
	v_fma_f64 v[74:75], v[156:157], s[18:19], v[103:104]
	v_fma_f64 v[76:77], v[158:159], s[20:21], v[105:106]
	;; [unrolled: 1-line block ×4, first 2 shown]
	v_add_f64_e32 v[22:23], v[164:165], v[22:23]
	v_add_f64_e32 v[20:21], v[166:167], v[20:21]
	v_fma_f64 v[85:86], v[168:169], s[18:19], v[107:108]
	v_fma_f64 v[87:88], v[170:171], s[20:21], v[109:110]
	;; [unrolled: 1-line block ×4, first 2 shown]
	v_add_f64_e32 v[32:33], v[188:189], v[32:33]
	v_fma_f64 v[93:94], v[192:193], s[18:19], v[113:114]
	v_fma_f64 v[95:96], v[194:195], s[20:21], v[115:116]
	;; [unrolled: 1-line block ×16, first 2 shown]
	v_add3_u32 v28, 0, v119, v235
	v_add3_u32 v29, 0, v121, v236
	;; [unrolled: 1-line block ×4, first 2 shown]
	global_wb scope:SCOPE_SE
	s_barrier_signal -1
	s_barrier_wait -1
	global_inv scope:SCOPE_SE
	ds_store_b128 v234, v[4:7]
	ds_store_b128 v234, v[42:45] offset:160
	ds_store_b128 v234, v[46:49] offset:320
	ds_store_b128 v239, v[8:11]
	ds_store_b128 v239, v[50:53] offset:160
	ds_store_b128 v239, v[54:57] offset:320
	;; [unrolled: 3-line block ×10, first 2 shown]
	v_mul_lo_u16 v8, 0x89, v212
	global_wb scope:SCOPE_SE
	s_wait_dscnt 0x0
	s_barrier_signal -1
	s_barrier_wait -1
	global_inv scope:SCOPE_SE
	s_clause 0x2
	global_load_b128 v[4:7], v80, s[8:9] offset:320
	global_load_b128 v[0:3], v80, s[8:9] offset:336
	;; [unrolled: 1-line block ×3, first 2 shown]
	v_lshrrev_b16 v128, 12, v8
	global_load_b128 v[8:11], v80, s[8:9] offset:368
	scratch_load_b32 v16, off, off th:TH_LOAD_LU ; 4-byte Folded Reload
	s_clause 0x2
	global_load_b128 v[60:63], v80, s[8:9] offset:400
	global_load_b128 v[56:59], v80, s[8:9] offset:416
	global_load_b128 v[64:67], v80, s[8:9] offset:384
	v_mul_lo_u16 v17, v128, 30
	global_load_b128 v[48:51], v80, s[8:9] offset:432
	v_and_b32_e32 v239, 0xffff, v128
	v_mul_u32_u24_e32 v131, 9, v120
	v_sub_nc_u16 v17, v209, v17
	s_delay_alu instid0(VALU_DEP_1) | instskip(NEXT) | instid1(VALU_DEP_1)
	v_and_b32_e32 v121, 0xff, v17
	v_mul_u32_u24_e32 v17, 9, v121
	v_lshlrev_b32_e32 v121, 4, v121
	s_delay_alu instid0(VALU_DEP_2)
	v_lshlrev_b32_e32 v68, 4, v17
	s_clause 0x2
	global_load_b128 v[44:47], v68, s[8:9] offset:336
	global_load_b128 v[40:43], v68, s[8:9] offset:368
	;; [unrolled: 1-line block ×3, first 2 shown]
	s_wait_loadcnt 0x7
	v_mul_u32_u24_e32 v16, 0x8889, v16
	s_delay_alu instid0(VALU_DEP_1) | instskip(NEXT) | instid1(VALU_DEP_1)
	v_lshrrev_b32_e32 v130, 20, v16
	v_mul_lo_u16 v16, v130, 30
	s_delay_alu instid0(VALU_DEP_1) | instskip(NEXT) | instid1(VALU_DEP_1)
	v_sub_nc_u16 v16, v210, v16
	v_and_b32_e32 v129, 0xffff, v16
	s_delay_alu instid0(VALU_DEP_1) | instskip(SKIP_1) | instid1(VALU_DEP_2)
	v_mul_u32_u24_e32 v16, 9, v129
	v_lshlrev_b32_e32 v255, 4, v129
	v_lshlrev_b32_e32 v84, 4, v16
	s_clause 0xf
	global_load_b128 v[16:19], v68, s[8:9] offset:432
	global_load_b128 v[36:39], v84, s[8:9] offset:336
	;; [unrolled: 1-line block ×16, first 2 shown]
	ds_load_b128 v[116:119], v208 offset:4800
	ds_load_b128 v[112:115], v208 offset:9600
	;; [unrolled: 1-line block ×26, first 2 shown]
	s_wait_dscnt 0x19
	v_mul_f64_e32 v[124:125], v[118:119], v[6:7]
	s_wait_dscnt 0x18
	v_mul_f64_e32 v[225:226], v[114:115], v[2:3]
	v_mul_f64_e32 v[227:228], v[112:113], v[2:3]
	v_mul_u32_u24_e32 v3, 0x12c0, v127
	s_wait_dscnt 0x17
	v_mul_f64_e32 v[127:128], v[110:111], v[14:15]
	v_mul_f64_e32 v[14:15], v[108:109], v[14:15]
	s_wait_dscnt 0x16
	v_mul_f64_e32 v[229:230], v[134:135], v[10:11]
	v_mul_f64_e32 v[10:11], v[132:133], v[10:11]
	s_wait_loadcnt_dscnt 0x1612
	v_mul_f64_e32 v[233:234], v[150:151], v[62:63]
	v_mul_f64_e32 v[62:63], v[148:149], v[62:63]
	s_wait_loadcnt_dscnt 0x1510
	v_mul_f64_e32 v[235:236], v[158:159], v[58:59]
	v_mul_f64_e32 v[58:59], v[156:157], v[58:59]
	;; [unrolled: 1-line block ×3, first 2 shown]
	s_wait_loadcnt 0x14
	v_mul_f64_e32 v[231:232], v[138:139], v[66:67]
	v_mul_f64_e32 v[66:67], v[136:137], v[66:67]
	s_wait_loadcnt_dscnt 0x130f
	v_mul_f64_e32 v[237:238], v[162:163], v[50:51]
	v_mul_f64_e32 v[50:51], v[160:161], v[50:51]
	v_mul_u32_u24_e32 v2, 0x12c0, v130
	s_delay_alu instid0(VALU_DEP_1)
	v_add3_u32 v2, 0, v2, v255
	v_fma_f64 v[116:117], v[116:117], v[4:5], -v[124:125]
	v_fma_f64 v[124:125], v[112:113], v[0:1], -v[225:226]
	v_fma_f64 v[225:226], v[114:115], v[0:1], v[227:228]
	s_wait_loadcnt_dscnt 0x1209
	v_mul_f64_e32 v[0:1], v[186:187], v[46:47]
	v_mul_f64_e32 v[46:47], v[184:185], v[46:47]
	s_wait_loadcnt_dscnt 0x1105
	v_mul_f64_e32 v[227:228], v[202:203], v[42:43]
	v_fma_f64 v[108:109], v[108:109], v[12:13], -v[127:128]
	v_fma_f64 v[110:111], v[110:111], v[12:13], v[14:15]
	v_mul_f64_e32 v[12:13], v[200:201], v[42:43]
	s_wait_loadcnt_dscnt 0x1003
	v_mul_f64_e32 v[14:15], v[211:212], v[34:35]
	v_mul_f64_e32 v[34:35], v[209:210], v[34:35]
	v_fma_f64 v[127:128], v[132:133], v[8:9], -v[229:230]
	v_fma_f64 v[132:133], v[134:135], v[8:9], v[10:11]
	v_fma_f64 v[148:149], v[148:149], v[60:61], -v[233:234]
	v_fma_f64 v[60:61], v[150:151], v[60:61], v[62:63]
	;; [unrolled: 2-line block ×3, first 2 shown]
	v_fma_f64 v[118:119], v[118:119], v[4:5], v[6:7]
	ds_load_b128 v[4:7], v208 offset:46400
	ds_load_b128 v[112:115], v208
	v_fma_f64 v[136:137], v[136:137], v[64:65], -v[231:232]
	v_fma_f64 v[64:65], v[138:139], v[64:65], v[66:67]
	v_fma_f64 v[160:161], v[160:161], v[48:49], -v[237:238]
	v_fma_f64 v[48:49], v[162:163], v[48:49], v[50:51]
	;; [unrolled: 2-line block ×3, first 2 shown]
	v_fma_f64 v[200:201], v[200:201], v[40:41], -v[227:228]
	v_mul_u32_u24_e32 v0, 0x12c0, v239
	v_lshlrev_b32_e32 v1, 4, v126
	v_fma_f64 v[40:41], v[202:203], v[40:41], v[12:13]
	v_fma_f64 v[209:210], v[209:210], v[32:33], -v[14:15]
	v_fma_f64 v[32:33], v[211:212], v[32:33], v[34:35]
	v_add3_u32 v0, 0, v0, v121
	v_add3_u32 v1, 0, v3, v1
	s_wait_loadcnt_dscnt 0xf03
	v_mul_f64_e32 v[42:43], v[219:220], v[18:19]
	v_mul_f64_e32 v[8:9], v[217:218], v[18:19]
	s_wait_loadcnt 0xe
	v_mul_f64_e32 v[18:19], v[190:191], v[38:39]
	v_mul_f64_e32 v[38:39], v[188:189], v[38:39]
	s_wait_loadcnt 0xd
	;; [unrolled: 3-line block ×3, first 2 shown]
	v_mul_f64_e32 v[62:63], v[206:207], v[54:55]
	s_wait_loadcnt 0x9
	v_mul_f64_e32 v[150:151], v[215:216], v[94:95]
	v_mul_f64_e32 v[58:59], v[213:214], v[94:95]
	s_wait_loadcnt_dscnt 0x802
	v_mul_f64_e32 v[94:95], v[223:224], v[106:107]
	v_mul_f64_e32 v[54:55], v[204:205], v[54:55]
	;; [unrolled: 1-line block ×7, first 2 shown]
	s_wait_loadcnt 0x7
	v_mul_f64_e32 v[158:159], v[170:171], v[102:103]
	v_mul_f64_e32 v[50:51], v[168:169], v[102:103]
	s_wait_loadcnt 0x6
	v_mul_f64_e32 v[102:103], v[178:179], v[98:99]
	v_mul_f64_e32 v[98:99], v[176:177], v[98:99]
	;; [unrolled: 3-line block ×5, first 2 shown]
	s_wait_loadcnt 0x2
	v_mul_f64_e32 v[202:203], v[174:175], v[74:75]
	s_wait_loadcnt 0x1
	v_mul_f64_e32 v[227:228], v[182:183], v[70:71]
	v_mul_f64_e32 v[34:35], v[180:181], v[70:71]
	s_wait_loadcnt_dscnt 0x1
	v_mul_f64_e32 v[70:71], v[6:7], v[86:87]
	v_mul_f64_e32 v[86:87], v[4:5], v[86:87]
	;; [unrolled: 1-line block ×3, first 2 shown]
	v_fma_f64 v[42:43], v[217:218], v[16:17], -v[42:43]
	v_fma_f64 v[16:17], v[219:220], v[16:17], v[8:9]
	v_fma_f64 v[18:19], v[188:189], v[36:37], -v[18:19]
	v_fma_f64 v[36:37], v[190:191], v[36:37], v[38:39]
	ds_load_b128 v[8:11], v208 offset:1600
	ds_load_b128 v[12:15], v208 offset:3200
	v_add_f64_e64 v[188:189], v[136:137], -v[108:109]
	v_fma_f64 v[38:39], v[204:205], v[52:53], -v[62:63]
	global_wb scope:SCOPE_SE
	s_wait_dscnt 0x0
	v_fma_f64 v[58:59], v[215:216], v[92:93], v[58:59]
	v_fma_f64 v[62:63], v[221:222], v[104:105], -v[94:95]
	v_fma_f64 v[94:95], v[192:193], v[28:29], -v[134:135]
	v_fma_f64 v[28:29], v[194:195], v[28:29], v[30:31]
	v_fma_f64 v[52:53], v[206:207], v[52:53], v[54:55]
	v_fma_f64 v[54:55], v[213:214], v[92:93], -v[150:151]
	v_fma_f64 v[92:93], v[223:224], v[104:105], v[106:107]
	v_fma_f64 v[30:31], v[140:141], v[24:25], -v[66:67]
	v_fma_f64 v[24:25], v[142:143], v[24:25], v[26:27]
	v_fma_f64 v[26:27], v[152:153], v[20:21], -v[138:139]
	v_fma_f64 v[20:21], v[154:155], v[20:21], v[22:23]
	v_fma_f64 v[22:23], v[168:169], v[100:101], -v[158:159]
	v_fma_f64 v[66:67], v[176:177], v[96:97], -v[102:103]
	v_fma_f64 v[96:97], v[178:179], v[96:97], v[98:99]
	v_fma_f64 v[98:99], v[196:197], v[88:89], -v[162:163]
	v_fma_f64 v[50:51], v[170:171], v[100:101], v[50:51]
	v_fma_f64 v[46:47], v[198:199], v[88:89], v[46:47]
	v_fma_f64 v[88:89], v[144:145], v[80:81], -v[90:91]
	v_fma_f64 v[80:81], v[146:147], v[80:81], v[82:83]
	v_fma_f64 v[82:83], v[164:165], v[76:77], -v[186:187]
	;; [unrolled: 2-line block ×3, first 2 shown]
	v_fma_f64 v[4:5], v[4:5], v[84:85], -v[70:71]
	v_fma_f64 v[6:7], v[6:7], v[84:85], v[86:87]
	v_add_f64_e32 v[84:85], v[132:133], v[60:61]
	v_add_f64_e32 v[86:87], v[225:226], v[48:49]
	v_add_f64_e64 v[170:171], v[110:111], -v[64:65]
	v_add_f64_e64 v[202:203], v[184:185], -v[200:201]
	;; [unrolled: 1-line block ×3, first 2 shown]
	v_fma_f64 v[34:35], v[182:183], v[68:69], v[34:35]
	v_add_f64_e64 v[204:205], v[42:43], -v[209:210]
	v_add_f64_e64 v[211:212], v[16:17], -v[32:33]
	;; [unrolled: 1-line block ×4, first 2 shown]
	v_fma_f64 v[72:73], v[174:175], v[72:73], v[74:75]
	v_add_f64_e32 v[174:175], v[136:137], v[156:157]
	v_fma_f64 v[74:75], v[180:181], v[68:69], -v[227:228]
	v_add_f64_e32 v[102:103], v[200:201], v[209:210]
	v_add_f64_e32 v[104:105], v[184:185], v[42:43]
	;; [unrolled: 1-line block ×4, first 2 shown]
	v_add_f64_e64 v[172:173], v[28:29], -v[56:57]
	v_add_f64_e32 v[129:130], v[44:45], v[16:17]
	v_add_f64_e32 v[140:141], v[38:39], v[54:55]
	;; [unrolled: 1-line block ×5, first 2 shown]
	v_add_f64_e64 v[154:155], v[124:125], -v[127:128]
	v_add_f64_e64 v[158:159], v[160:161], -v[148:149]
	v_add_f64_e64 v[162:163], v[225:226], -v[132:133]
	v_add_f64_e64 v[164:165], v[48:49], -v[60:61]
	v_add_f64_e64 v[166:167], v[108:109], -v[136:137]
	v_add_f64_e64 v[168:169], v[94:95], -v[156:157]
	v_add_f64_e64 v[221:222], v[200:201], -v[184:185]
	v_add_f64_e64 v[223:224], v[209:210], -v[42:43]
	v_add_f64_e64 v[178:179], v[127:128], -v[124:125]
	v_add_f64_e64 v[180:181], v[148:149], -v[160:161]
	v_add_f64_e64 v[231:232], v[22:23], -v[26:27]
	v_add_f64_e64 v[233:234], v[66:67], -v[98:99]
	v_add_f64_e32 v[100:101], v[114:115], v[225:226]
	v_add_f64_e32 v[134:135], v[8:9], v[184:185]
	;; [unrolled: 1-line block ×5, first 2 shown]
	v_fma_f64 v[84:85], v[84:85], -0.5, v[114:115]
	v_fma_f64 v[86:87], v[86:87], -0.5, v[114:115]
	v_add_f64_e32 v[114:115], v[116:117], v[108:109]
	v_add_f64_e32 v[196:197], v[110:111], v[28:29]
	;; [unrolled: 1-line block ×8, first 2 shown]
	v_add_f64_e64 v[235:236], v[50:51], -v[20:21]
	v_add_f64_e64 v[237:238], v[96:97], -v[46:47]
	v_add_f64_e32 v[239:240], v[22:23], v[66:67]
	v_add_f64_e32 v[243:244], v[50:51], v[96:97]
	v_add_f64_e64 v[192:193], v[156:157], -v[94:95]
	v_add_f64_e32 v[170:171], v[170:171], v[172:173]
	v_add_f64_e32 v[172:173], v[118:119], v[110:111]
	v_add_f64_e64 v[194:195], v[64:65], -v[110:111]
	v_add_f64_e64 v[198:199], v[56:57], -v[28:29]
	;; [unrolled: 1-line block ×6, first 2 shown]
	v_add_f64_e32 v[245:246], v[26:27], v[98:99]
	v_add_f64_e32 v[247:248], v[20:21], v[46:47]
	v_fma_f64 v[174:175], v[174:175], -0.5, v[116:117]
	v_fma_f64 v[116:117], v[190:191], -0.5, v[116:117]
	v_add_f64_e32 v[190:191], v[24:25], v[20:21]
	v_add_f64_e32 v[90:91], v[112:113], v[124:125]
	;; [unrolled: 1-line block ×3, first 2 shown]
	v_add_f64_e64 v[227:228], v[40:41], -v[44:45]
	v_add_f64_e64 v[229:230], v[32:33], -v[16:17]
	v_fma_f64 v[102:103], v[102:103], -0.5, v[8:9]
	v_fma_f64 v[8:9], v[104:105], -0.5, v[8:9]
	;; [unrolled: 1-line block ×4, first 2 shown]
	v_add_f64_e64 v[106:107], v[82:83], -v[78:79]
	v_add_f64_e64 v[129:130], v[4:5], -v[74:75]
	v_fma_f64 v[140:141], v[140:141], -0.5, v[12:13]
	v_fma_f64 v[12:13], v[142:143], -0.5, v[12:13]
	;; [unrolled: 1-line block ×4, first 2 shown]
	v_add_f64_e64 v[144:145], v[76:77], -v[72:73]
	v_add_f64_e64 v[146:147], v[6:7], -v[34:35]
	v_add_f64_e32 v[154:155], v[154:155], v[158:159]
	v_add_f64_e32 v[158:159], v[72:73], v[34:35]
	;; [unrolled: 1-line block ×3, first 2 shown]
	v_add_f64_e64 v[164:165], v[38:39], -v[18:19]
	v_add_f64_e32 v[166:167], v[166:167], v[168:169]
	v_add_f64_e64 v[168:169], v[54:55], -v[62:63]
	v_add_f64_e32 v[221:222], v[221:222], v[223:224]
	v_add_f64_e32 v[223:224], v[78:79], v[74:75]
	;; [unrolled: 1-line block ×8, first 2 shown]
	v_fma_f64 v[176:177], v[176:177], -0.5, v[118:119]
	v_add_f64_e32 v[100:101], v[100:101], v[132:133]
	v_add_f64_e64 v[108:109], v[108:109], -v[94:95]
	v_add_f64_e64 v[110:111], v[110:111], -v[28:29]
	v_add_f64_e32 v[114:115], v[114:115], v[136:137]
	v_add_f64_e32 v[172:173], v[172:173], v[64:65]
	;; [unrolled: 1-line block ×7, first 2 shown]
	v_fma_f64 v[118:119], v[196:197], -0.5, v[118:119]
	v_add_f64_e64 v[136:137], v[136:137], -v[156:157]
	v_add_f64_e64 v[64:65], v[64:65], -v[56:57]
	v_add_f64_e32 v[186:187], v[186:187], v[22:23]
	v_add_f64_e64 v[26:27], v[26:27], -v[98:99]
	v_add_f64_e64 v[20:21], v[20:21], -v[46:47]
	v_add_f64_e32 v[235:236], v[235:236], v[237:238]
	v_fma_f64 v[237:238], v[239:240], -0.5, v[30:31]
	v_fma_f64 v[239:240], v[243:244], -0.5, v[24:25]
	v_add_f64_e32 v[188:189], v[188:189], v[192:193]
	v_add_f64_e64 v[192:193], v[52:53], -v[36:37]
	v_add_f64_e32 v[194:195], v[194:195], v[198:199]
	v_add_f64_e64 v[198:199], v[58:59], -v[92:93]
	;; [unrolled: 2-line block ×4, first 2 shown]
	v_add_f64_e64 v[196:197], v[72:73], -v[76:77]
	v_add_f64_e64 v[132:133], v[34:35], -v[6:7]
	;; [unrolled: 1-line block ×3, first 2 shown]
	v_add_f64_e32 v[190:191], v[190:191], v[50:51]
	v_add_f64_e64 v[50:51], v[50:51], -v[96:97]
	v_fma_f64 v[30:31], v[245:246], -0.5, v[30:31]
	v_fma_f64 v[24:25], v[247:248], -0.5, v[24:25]
	v_add_f64_e32 v[90:91], v[90:91], v[127:128]
	v_add_f64_e32 v[227:228], v[227:228], v[229:230]
	v_add_f64_e64 v[229:230], v[78:79], -v[82:83]
	v_add_f64_e64 v[126:127], v[74:75], -v[4:5]
	v_add_f64_e64 v[44:45], v[44:45], -v[16:17]
	v_add_f64_e64 v[82:83], v[82:83], -v[4:5]
	v_add_f64_e64 v[76:77], v[76:77], -v[6:7]
	v_add_f64_e32 v[106:107], v[106:107], v[129:130]
	v_add_f64_e32 v[128:129], v[144:145], v[146:147]
	v_fma_f64 v[144:145], v[158:159], -0.5, v[80:81]
	v_add_f64_e32 v[146:147], v[164:165], v[168:169]
	v_fma_f64 v[164:165], v[223:224], -0.5, v[88:89]
	v_add_f64_e64 v[78:79], v[78:79], -v[74:75]
	v_add_f64_e64 v[72:73], v[72:73], -v[34:35]
	v_fma_f64 v[80:81], v[180:181], -0.5, v[80:81]
	v_fma_f64 v[88:89], v[233:234], -0.5, v[88:89]
	v_add_f64_e64 v[253:254], v[36:37], -v[52:53]
	v_fma_f64 v[68:69], v[68:69], -0.5, v[112:113]
	v_fma_f64 v[70:71], v[70:71], -0.5, v[112:113]
	v_add_f64_e64 v[112:113], v[92:93], -v[58:59]
	v_add_f64_e64 v[40:41], v[40:41], -v[32:33]
	;; [unrolled: 1-line block ×3, first 2 shown]
	v_add_f64_e32 v[60:61], v[100:101], v[60:61]
	v_add_f64_e32 v[100:101], v[114:115], v[156:157]
	;; [unrolled: 1-line block ×8, first 2 shown]
	v_fma_f64 v[134:135], v[108:109], s[12:13], v[176:177]
	v_fma_f64 v[138:139], v[110:111], s[4:5], v[174:175]
	;; [unrolled: 1-line block ×4, first 2 shown]
	v_add_f64_e32 v[150:151], v[150:151], v[38:39]
	v_add_f64_e32 v[66:67], v[186:187], v[66:67]
	v_fma_f64 v[116:117], v[64:65], s[4:5], v[116:117]
	v_fma_f64 v[118:119], v[136:137], s[12:13], v[118:119]
	v_add_f64_e64 v[225:226], v[225:226], -v[48:49]
	v_add_f64_e64 v[124:125], v[124:125], -v[160:161]
	v_fma_f64 v[174:175], v[110:111], s[12:13], v[174:175]
	v_fma_f64 v[176:177], v[108:109], s[4:5], v[176:177]
	;; [unrolled: 1-line block ×4, first 2 shown]
	v_add_f64_e64 v[200:201], v[200:201], -v[209:210]
	v_add_f64_e32 v[158:159], v[192:193], v[198:199]
	v_add_f64_e32 v[132:133], v[196:197], v[132:133]
	;; [unrolled: 1-line block ×3, first 2 shown]
	v_fma_f64 v[172:173], v[219:220], s[4:5], v[86:87]
	v_fma_f64 v[86:87], v[219:220], s[12:13], v[86:87]
	;; [unrolled: 1-line block ×4, first 2 shown]
	v_add_f64_e32 v[90:91], v[90:91], v[148:149]
	v_fma_f64 v[30:31], v[50:51], s[4:5], v[30:31]
	v_fma_f64 v[24:25], v[22:23], s[12:13], v[24:25]
	v_add_f64_e64 v[249:250], v[18:19], -v[38:39]
	v_add_f64_e64 v[251:252], v[62:63], -v[54:55]
	;; [unrolled: 1-line block ×3, first 2 shown]
	v_fma_f64 v[211:212], v[20:21], s[12:13], v[237:238]
	v_fma_f64 v[223:224], v[26:27], s[4:5], v[239:240]
	v_add_f64_e32 v[126:127], v[229:230], v[126:127]
	v_fma_f64 v[190:191], v[44:45], s[4:5], v[102:103]
	v_fma_f64 v[102:103], v[44:45], s[12:13], v[102:103]
	;; [unrolled: 1-line block ×10, first 2 shown]
	v_add_f64_e32 v[28:29], v[56:57], v[28:29]
	v_add_f64_e32 v[56:57], v[58:59], v[92:93]
	v_add_f64_e32 v[58:59], v[74:75], v[4:5]
	v_add_f64_e32 v[34:35], v[34:35], v[6:7]
	v_fma_f64 v[4:5], v[136:137], s[10:11], v[134:135]
	v_fma_f64 v[6:7], v[64:65], s[0:1], v[138:139]
	v_add_f64_e64 v[36:37], v[36:37], -v[92:93]
	v_fma_f64 v[74:75], v[108:109], s[10:11], v[152:153]
	v_fma_f64 v[92:93], v[110:111], s[0:1], v[156:157]
	v_add_f64_e32 v[54:55], v[150:151], v[54:55]
	v_add_f64_e32 v[48:49], v[60:61], v[48:49]
	;; [unrolled: 1-line block ×5, first 2 shown]
	v_fma_f64 v[98:99], v[110:111], s[10:11], v[116:117]
	v_fma_f64 v[100:101], v[108:109], s[0:1], v[118:119]
	;; [unrolled: 1-line block ×6, first 2 shown]
	v_add_f64_e64 v[184:185], v[184:185], -v[42:43]
	v_add_f64_e32 v[42:43], v[114:115], v[42:43]
	v_fma_f64 v[110:111], v[22:23], s[10:11], v[180:181]
	v_fma_f64 v[114:115], v[50:51], s[0:1], v[186:187]
	v_add_f64_e64 v[18:19], v[18:19], -v[62:63]
	v_fma_f64 v[84:85], v[124:125], s[4:5], v[84:85]
	v_fma_f64 v[209:210], v[200:201], s[4:5], v[10:11]
	;; [unrolled: 1-line block ×3, first 2 shown]
	v_add_f64_e32 v[46:47], v[96:97], v[46:47]
	v_fma_f64 v[96:97], v[124:125], s[10:11], v[172:173]
	v_fma_f64 v[86:87], v[124:125], s[0:1], v[86:87]
	;; [unrolled: 1-line block ×7, first 2 shown]
	v_add_f64_e32 v[90:91], v[90:91], v[160:161]
	v_fma_f64 v[20:21], v[20:21], s[10:11], v[30:31]
	v_fma_f64 v[24:25], v[26:27], s[0:1], v[24:25]
	v_add_f64_e32 v[243:244], v[249:250], v[251:252]
	v_fma_f64 v[249:250], v[52:53], s[12:13], v[12:13]
	v_fma_f64 v[251:252], v[38:39], s[4:5], v[14:15]
	;; [unrolled: 1-line block ×21, first 2 shown]
	v_add_f64_e32 v[54:55], v[54:55], v[62:63]
	v_fma_f64 v[98:99], v[188:189], s[14:15], v[98:99]
	v_fma_f64 v[100:101], v[194:195], s[14:15], v[100:101]
	;; [unrolled: 1-line block ×15, first 2 shown]
	v_add_f64_e32 v[6:7], v[48:49], v[28:29]
	v_add_f64_e64 v[10:11], v[48:49], -v[28:29]
	v_fma_f64 v[28:29], v[235:236], s[14:15], v[124:125]
	v_fma_f64 v[48:49], v[231:232], s[14:15], v[134:135]
	;; [unrolled: 1-line block ×5, first 2 shown]
	v_add_f64_e32 v[4:5], v[90:91], v[60:61]
	v_add_f64_e64 v[8:9], v[90:91], -v[60:61]
	v_fma_f64 v[60:61], v[231:232], s[14:15], v[20:21]
	v_fma_f64 v[90:91], v[235:236], s[14:15], v[24:25]
	;; [unrolled: 1-line block ×7, first 2 shown]
	v_add_f64_e32 v[12:13], v[42:43], v[16:17]
	v_add_f64_e32 v[14:15], v[32:33], v[46:47]
	v_add_f64_e64 v[16:17], v[42:43], -v[16:17]
	v_add_f64_e64 v[18:19], v[32:33], -v[46:47]
	v_fma_f64 v[32:33], v[213:214], s[14:15], v[26:27]
	v_fma_f64 v[42:43], v[217:218], s[14:15], v[22:23]
	;; [unrolled: 1-line block ×12, first 2 shown]
	v_mul_f64_e32 v[106:107], s[0:1], v[82:83]
	v_mul_f64_e32 v[126:127], s[10:11], v[88:89]
	;; [unrolled: 1-line block ×4, first 2 shown]
	v_add_f64_e32 v[20:21], v[54:55], v[58:59]
	v_add_f64_e32 v[22:23], v[56:57], v[34:35]
	v_add_f64_e64 v[24:25], v[54:55], -v[58:59]
	v_add_f64_e64 v[26:27], v[56:57], -v[34:35]
	v_mul_f64_e32 v[34:35], s[14:15], v[98:99]
	v_mul_f64_e32 v[54:55], s[14:15], v[100:101]
	v_fma_f64 v[56:57], v[154:155], s[14:15], v[62:63]
	v_fma_f64 v[58:59], v[162:163], s[14:15], v[66:67]
	v_mul_f64_e32 v[62:63], s[16:17], v[64:65]
	v_mul_f64_e32 v[66:67], s[16:17], v[108:109]
	v_fma_f64 v[116:117], v[40:41], s[0:1], v[190:191]
	v_fma_f64 v[118:119], v[200:201], s[10:11], v[192:193]
	;; [unrolled: 1-line block ×5, first 2 shown]
	v_mul_f64_e32 v[134:135], s[0:1], v[110:111]
	v_mul_f64_e32 v[140:141], s[10:11], v[114:115]
	v_fma_f64 v[138:139], v[184:185], s[10:11], v[209:210]
	v_fma_f64 v[150:151], v[38:39], s[10:11], v[239:240]
	;; [unrolled: 1-line block ×3, first 2 shown]
	v_mul_f64_e32 v[142:143], s[4:5], v[28:29]
	v_mul_f64_e32 v[152:153], s[12:13], v[48:49]
	v_fma_f64 v[68:69], v[154:155], s[14:15], v[68:69]
	v_mul_f64_e32 v[154:155], s[14:15], v[60:61]
	v_mul_f64_e32 v[156:157], s[14:15], v[90:91]
	v_add_f64_e32 v[112:113], v[253:254], v[112:113]
	v_fma_f64 v[84:85], v[162:163], s[14:15], v[84:85]
	v_mul_f64_e32 v[162:163], s[16:17], v[32:33]
	v_mul_f64_e32 v[166:167], s[16:17], v[42:43]
	;; [unrolled: 1-line block ×6, first 2 shown]
	v_fma_f64 v[94:95], v[178:179], s[14:15], v[94:95]
	v_fma_f64 v[70:71], v[178:179], s[14:15], v[70:71]
	v_mul_f64_e32 v[176:177], s[14:15], v[76:77]
	v_mul_f64_e32 v[178:179], s[14:15], v[80:81]
	v_fma_f64 v[96:97], v[182:183], s[14:15], v[96:97]
	v_fma_f64 v[86:87], v[182:183], s[14:15], v[86:87]
	v_mul_f64_e32 v[180:181], s[16:17], v[72:73]
	v_mul_f64_e32 v[182:183], s[16:17], v[78:79]
	v_fma_f64 v[88:89], v[88:89], s[16:17], v[106:107]
	v_fma_f64 v[82:83], v[82:83], s[16:17], v[126:127]
	;; [unrolled: 1-line block ×4, first 2 shown]
	v_fma_f64 v[100:101], v[100:101], s[4:5], -v[34:35]
	v_fma_f64 v[54:55], v[98:99], s[12:13], -v[54:55]
	;; [unrolled: 1-line block ×4, first 2 shown]
	v_fma_f64 v[116:117], v[202:203], s[14:15], v[116:117]
	v_fma_f64 v[118:119], v[206:207], s[14:15], v[118:119]
	;; [unrolled: 1-line block ×12, first 2 shown]
	v_fma_f64 v[90:91], v[90:91], s[4:5], -v[154:155]
	v_fma_f64 v[146:147], v[60:61], s[12:13], -v[156:157]
	v_fma_f64 v[98:99], v[202:203], s[14:15], v[30:31]
	v_fma_f64 v[136:137], v[206:207], s[14:15], v[40:41]
	;; [unrolled: 1-line block ×4, first 2 shown]
	v_fma_f64 v[112:113], v[42:43], s[0:1], -v[162:163]
	v_fma_f64 v[152:153], v[32:33], s[10:11], -v[166:167]
	v_fma_f64 v[104:105], v[243:244], s[14:15], v[104:105]
	v_fma_f64 v[154:155], v[50:51], s[16:17], v[168:169]
	v_fma_f64 v[156:157], v[46:47], s[16:17], v[170:171]
	v_fma_f64 v[134:135], v[158:159], s[14:15], v[160:161]
	v_fma_f64 v[144:145], v[158:159], s[14:15], v[164:165]
	v_fma_f64 v[124:125], v[124:125], s[14:15], v[172:173]
	v_fma_f64 v[158:159], v[102:103], s[14:15], v[174:175]
	v_fma_f64 v[160:161], v[80:81], s[4:5], -v[176:177]
	v_fma_f64 v[162:163], v[76:77], s[12:13], -v[178:179]
	v_fma_f64 v[148:149], v[243:244], s[14:15], v[52:53]
	v_fma_f64 v[164:165], v[78:79], s[0:1], -v[180:181]
	v_fma_f64 v[166:167], v[72:73], s[10:11], -v[182:183]
	v_add_f64_e32 v[28:29], v[56:57], v[88:89]
	v_add_f64_e32 v[30:31], v[58:59], v[82:83]
	;; [unrolled: 1-line block ×6, first 2 shown]
	v_add_f64_e64 v[50:51], v[86:87], -v[54:55]
	v_add_f64_e32 v[52:53], v[68:69], v[62:63]
	v_add_f64_e32 v[54:55], v[84:85], v[64:65]
	v_add_f64_e64 v[32:33], v[56:57], -v[88:89]
	v_add_f64_e64 v[34:35], v[58:59], -v[82:83]
	;; [unrolled: 1-line block ×7, first 2 shown]
	v_add_f64_e32 v[60:61], v[116:117], v[66:67]
	v_add_f64_e32 v[62:63], v[118:119], v[110:111]
	v_add_f64_e32 v[68:69], v[106:107], v[138:139]
	v_add_f64_e32 v[70:71], v[126:127], v[140:141]
	v_add_f64_e32 v[76:77], v[128:129], v[90:91]
	v_add_f64_e32 v[78:79], v[132:133], v[146:147]
	v_add_f64_e64 v[64:65], v[116:117], -v[66:67]
	v_add_f64_e64 v[66:67], v[118:119], -v[110:111]
	v_add_f64_e32 v[84:85], v[98:99], v[112:113]
	v_add_f64_e32 v[86:87], v[136:137], v[152:153]
	v_add_f64_e64 v[72:73], v[106:107], -v[138:139]
	v_add_f64_e64 v[74:75], v[126:127], -v[140:141]
	;; [unrolled: 1-line block ×6, first 2 shown]
	v_add_f64_e32 v[92:93], v[104:105], v[154:155]
	v_add_f64_e32 v[94:95], v[108:109], v[156:157]
	;; [unrolled: 1-line block ×4, first 2 shown]
	v_add_f64_e64 v[98:99], v[108:109], -v[156:157]
	v_add_f64_e32 v[108:109], v[142:143], v[160:161]
	v_add_f64_e32 v[110:111], v[144:145], v[162:163]
	v_add_f64_e64 v[96:97], v[104:105], -v[154:155]
	v_add_f64_e64 v[104:105], v[114:115], -v[124:125]
	v_add_f64_e32 v[112:113], v[148:149], v[164:165]
	v_add_f64_e32 v[114:115], v[150:151], v[166:167]
	v_add_f64_e64 v[106:107], v[134:135], -v[158:159]
	v_add_f64_e64 v[116:117], v[142:143], -v[160:161]
	;; [unrolled: 1-line block ×5, first 2 shown]
	v_lshlrev_b32_e32 v124, 4, v131
	s_barrier_signal -1
	s_barrier_wait -1
	global_inv scope:SCOPE_SE
	ds_store_b128 v1, v[4:7]
	ds_store_b128 v1, v[28:31] offset:480
	ds_store_b128 v1, v[36:39] offset:960
	ds_store_b128 v1, v[44:47] offset:1440
	ds_store_b128 v1, v[8:11] offset:2400
	ds_store_b128 v1, v[52:55] offset:1920
	ds_store_b128 v1, v[32:35] offset:2880
	ds_store_b128 v1, v[40:43] offset:3360
	ds_store_b128 v1, v[48:51] offset:3840
	ds_store_b128 v1, v[56:59] offset:4320
	ds_store_b128 v0, v[12:15]
	ds_store_b128 v0, v[60:63] offset:480
	ds_store_b128 v0, v[68:71] offset:960
	ds_store_b128 v0, v[76:79] offset:1440
	ds_store_b128 v0, v[84:87] offset:1920
	ds_store_b128 v0, v[16:19] offset:2400
	ds_store_b128 v0, v[64:67] offset:2880
	ds_store_b128 v0, v[72:75] offset:3360
	ds_store_b128 v0, v[80:83] offset:3840
	ds_store_b128 v0, v[88:91] offset:4320
	;; [unrolled: 10-line block ×3, first 2 shown]
	global_wb scope:SCOPE_SE
	s_wait_dscnt 0x0
	s_barrier_signal -1
	s_barrier_wait -1
	global_inv scope:SCOPE_SE
	s_clause 0x1a
	global_load_b128 v[20:23], v124, s[8:9] offset:4640
	global_load_b128 v[12:15], v124, s[8:9] offset:4656
	;; [unrolled: 1-line block ×27, first 2 shown]
	ds_load_b128 v[56:59], v208 offset:4800
	ds_load_b128 v[112:115], v208 offset:9600
	;; [unrolled: 1-line block ×27, first 2 shown]
	ds_load_b128 v[0:3], v208
	s_wait_loadcnt_dscnt 0x1a1b
	v_mul_f64_e32 v[48:49], v[58:59], v[22:23]
	s_wait_loadcnt_dscnt 0x191a
	v_mul_f64_e32 v[54:55], v[114:115], v[14:15]
	v_mul_f64_e32 v[14:15], v[112:113], v[14:15]
	;; [unrolled: 1-line block ×3, first 2 shown]
	s_wait_loadcnt_dscnt 0x1819
	v_mul_f64_e32 v[60:61], v[118:119], v[10:11]
	v_mul_f64_e32 v[10:11], v[116:117], v[10:11]
	s_wait_loadcnt_dscnt 0x1718
	v_mul_f64_e32 v[78:79], v[144:145], v[6:7]
	s_wait_loadcnt_dscnt 0x1616
	v_mul_f64_e32 v[88:89], v[152:153], v[46:47]
	v_mul_f64_e32 v[98:99], v[150:151], v[46:47]
	s_wait_loadcnt_dscnt 0x1511
	v_mul_f64_e32 v[124:125], v[172:173], v[42:43]
	v_mul_f64_e32 v[206:207], v[170:171], v[42:43]
	v_mul_f64_e32 v[6:7], v[142:143], v[6:7]
	s_wait_loadcnt_dscnt 0x140f
	v_mul_f64_e32 v[245:246], v[178:179], v[38:39]
	v_mul_f64_e32 v[243:244], v[180:181], v[38:39]
	s_wait_loadcnt_dscnt 0x130d
	v_mul_f64_e32 v[247:248], v[188:189], v[30:31]
	v_mul_f64_e32 v[249:250], v[186:187], v[30:31]
	;; [unrolled: 3-line block ×3, first 2 shown]
	v_fma_f64 v[56:57], v[56:57], v[20:21], -v[48:49]
	v_fma_f64 v[30:31], v[112:113], v[12:13], -v[54:55]
	v_fma_f64 v[38:39], v[114:115], v[12:13], v[14:15]
	s_wait_loadcnt_dscnt 0x1005
	v_mul_f64_e32 v[112:113], v[223:224], v[68:69]
	v_mul_f64_e32 v[68:69], v[221:222], v[68:69]
	s_wait_loadcnt 0xf
	v_mul_f64_e32 v[114:115], v[196:197], v[18:19]
	v_mul_f64_e32 v[12:13], v[194:195], v[18:19]
	v_fma_f64 v[48:49], v[58:59], v[20:21], v[22:23]
	v_mul_f64_e32 v[54:55], v[215:216], v[64:65]
	v_mul_f64_e32 v[64:65], v[213:214], v[64:65]
	v_fma_f64 v[60:61], v[116:117], v[8:9], -v[60:61]
	v_fma_f64 v[58:59], v[118:119], v[8:9], v[10:11]
	s_wait_loadcnt_dscnt 0xe03
	v_mul_f64_e32 v[116:117], v[231:232], v[34:35]
	v_mul_f64_e32 v[118:119], v[229:230], v[34:35]
	v_fma_f64 v[42:43], v[142:143], v[4:5], -v[78:79]
	s_wait_loadcnt 0xc
	v_mul_f64_e32 v[78:79], v[211:212], v[72:73]
	v_fma_f64 v[52:53], v[150:151], v[44:45], -v[88:89]
	v_fma_f64 v[44:45], v[152:153], v[44:45], v[98:99]
	s_wait_loadcnt 0xb
	v_mul_f64_e32 v[150:151], v[160:161], v[76:77]
	v_mul_f64_e32 v[152:153], v[158:159], v[76:77]
	s_wait_loadcnt 0x9
	v_mul_f64_e32 v[76:77], v[219:220], v[86:87]
	v_fma_f64 v[18:19], v[170:171], v[40:41], -v[124:125]
	v_fma_f64 v[20:21], v[172:173], v[40:41], v[206:207]
	v_mul_f64_e32 v[86:87], v[217:218], v[86:87]
	s_wait_loadcnt 0x8
	v_mul_f64_e32 v[172:173], v[227:228], v[92:93]
	s_wait_loadcnt_dscnt 0x702
	v_mul_f64_e32 v[206:207], v[235:236], v[96:97]
	v_mul_f64_e32 v[124:125], v[225:226], v[92:93]
	v_fma_f64 v[46:47], v[144:145], v[4:5], v[6:7]
	v_mul_f64_e32 v[142:143], v[148:149], v[26:27]
	v_mul_f64_e32 v[72:73], v[209:210], v[72:73]
	;; [unrolled: 1-line block ×3, first 2 shown]
	v_fma_f64 v[26:27], v[180:181], v[36:37], v[245:246]
	v_mul_f64_e32 v[180:181], v[233:234], v[96:97]
	v_mul_f64_e32 v[14:15], v[168:169], v[82:83]
	v_fma_f64 v[22:23], v[178:179], v[36:37], -v[243:244]
	v_mul_f64_e32 v[82:83], v[166:167], v[82:83]
	s_wait_loadcnt 0x6
	v_mul_f64_e32 v[243:244], v[184:185], v[102:103]
	v_mul_f64_e32 v[245:246], v[182:183], v[102:103]
	v_fma_f64 v[178:179], v[186:187], v[28:29], -v[247:248]
	v_fma_f64 v[170:171], v[188:189], v[28:29], v[249:250]
	s_wait_loadcnt 0x5
	v_mul_f64_e32 v[186:187], v[200:201], v[106:107]
	v_mul_f64_e32 v[106:107], v[198:199], v[106:107]
	s_wait_loadcnt 0x4
	v_mul_f64_e32 v[188:189], v[156:157], v[110:111]
	v_mul_f64_e32 v[247:248], v[154:155], v[110:111]
	v_fma_f64 v[36:37], v[202:203], v[50:51], -v[251:252]
	v_fma_f64 v[40:41], v[204:205], v[50:51], v[253:254]
	s_wait_loadcnt 0x3
	v_mul_f64_e32 v[202:203], v[164:165], v[128:129]
	v_mul_f64_e32 v[128:129], v[162:163], v[128:129]
	s_wait_loadcnt 0x2
	v_mul_f64_e32 v[204:205], v[176:177], v[132:133]
	v_fma_f64 v[34:35], v[223:224], v[66:67], v[68:69]
	v_fma_f64 v[68:69], v[194:195], v[16:17], -v[114:115]
	v_fma_f64 v[16:17], v[196:197], v[16:17], v[12:13]
	v_fma_f64 v[50:51], v[213:214], v[62:63], -v[54:55]
	v_fma_f64 v[54:55], v[215:216], v[62:63], v[64:65]
	s_wait_loadcnt 0x1
	v_mul_f64_e32 v[213:214], v[192:193], v[136:137]
	v_mul_f64_e32 v[136:137], v[190:191], v[136:137]
	v_fma_f64 v[28:29], v[221:222], v[66:67], -v[112:113]
	v_fma_f64 v[62:63], v[229:230], v[32:33], -v[116:117]
	v_fma_f64 v[32:33], v[231:232], v[32:33], v[118:119]
	v_mul_f64_e32 v[132:133], v[174:175], v[132:133]
	s_wait_loadcnt_dscnt 0x1
	v_mul_f64_e32 v[215:216], v[239:240], v[140:141]
	v_mul_f64_e32 v[140:141], v[237:238], v[140:141]
	v_fma_f64 v[88:89], v[209:210], v[70:71], -v[78:79]
	v_fma_f64 v[92:93], v[217:218], v[84:85], -v[76:77]
	v_fma_f64 v[98:99], v[219:220], v[84:85], v[86:87]
	v_fma_f64 v[76:77], v[225:226], v[90:91], -v[172:173]
	v_fma_f64 v[64:65], v[233:234], v[94:95], -v[206:207]
	v_fma_f64 v[78:79], v[227:228], v[90:91], v[124:125]
	v_fma_f64 v[96:97], v[211:212], v[70:71], v[72:73]
	;; [unrolled: 1-line block ×4, first 2 shown]
	v_fma_f64 v[94:95], v[146:147], v[24:25], -v[142:143]
	v_fma_f64 v[116:117], v[158:159], v[74:75], -v[150:151]
	v_fma_f64 v[110:111], v[160:161], v[74:75], v[152:153]
	v_fma_f64 v[118:119], v[166:167], v[80:81], -v[14:15]
	v_fma_f64 v[112:113], v[168:169], v[80:81], v[82:83]
	;; [unrolled: 2-line block ×5, first 2 shown]
	v_add_f64_e64 v[158:159], v[30:31], -v[42:43]
	v_add_f64_e64 v[160:161], v[178:179], -v[18:19]
	v_fma_f64 v[114:115], v[162:163], v[126:127], -v[202:203]
	v_fma_f64 v[104:105], v[164:165], v[126:127], v[128:129]
	v_fma_f64 v[108:109], v[174:175], v[130:131], -v[204:205]
	v_add_f64_e64 v[162:163], v[38:39], -v[46:47]
	v_add_f64_e64 v[164:165], v[170:171], -v[20:21]
	;; [unrolled: 1-line block ×6, first 2 shown]
	v_fma_f64 v[86:87], v[192:193], v[134:135], v[136:137]
	v_add_f64_e32 v[136:137], v[50:51], v[28:29]
	v_add_f64_e32 v[146:147], v[36:37], v[62:63]
	v_add_f64_e32 v[148:149], v[54:55], v[34:35]
	v_add_f64_e32 v[150:151], v[40:41], v[32:33]
	v_fma_f64 v[106:107], v[176:177], v[130:131], v[132:133]
	v_fma_f64 v[84:85], v[190:191], v[134:135], -v[213:214]
	v_fma_f64 v[72:73], v[237:238], v[138:139], -v[215:216]
	v_fma_f64 v[74:75], v[239:240], v[138:139], v[140:141]
	v_add_f64_e32 v[138:139], v[42:43], v[18:19]
	v_add_f64_e32 v[140:141], v[30:31], v[178:179]
	;; [unrolled: 1-line block ×7, first 2 shown]
	v_add_f64_e64 v[186:187], v[46:47], -v[38:39]
	v_add_f64_e64 v[188:189], v[20:21], -v[170:171]
	v_add_f64_e32 v[156:157], v[96:97], v[66:67]
	v_add_f64_e64 v[206:207], v[40:41], -v[54:55]
	v_add_f64_e64 v[209:210], v[32:33], -v[34:35]
	ds_load_b128 v[8:11], v208 offset:1600
	ds_load_b128 v[4:7], v208 offset:3200
	s_wait_dscnt 0x2
	v_add_f64_e32 v[126:127], v[0:1], v[30:31]
	v_add_f64_e32 v[130:131], v[56:57], v[60:61]
	;; [unrolled: 1-line block ×4, first 2 shown]
	v_add_f64_e64 v[182:183], v[42:43], -v[30:31]
	v_add_f64_e64 v[184:185], v[18:19], -v[178:179]
	v_add_f64_e32 v[158:159], v[158:159], v[160:161]
	v_add_f64_e32 v[160:161], v[94:95], v[116:117]
	v_add_f64_e32 v[128:129], v[2:3], v[38:39]
	v_add_f64_e32 v[192:193], v[60:61], v[68:69]
	v_add_f64_e32 v[198:199], v[58:59], v[16:17]
	v_add_f64_e32 v[162:163], v[162:163], v[164:165]
	v_add_f64_e32 v[164:165], v[102:103], v[110:111]
	v_add_f64_e32 v[166:167], v[166:167], v[168:169]
	v_add_f64_e32 v[168:169], v[90:91], v[114:115]
	v_add_f64_e32 v[172:173], v[172:173], v[174:175]
	v_add_f64_e32 v[174:175], v[100:101], v[104:105]
	v_add_f64_e32 v[219:220], v[118:119], v[80:81]
	s_wait_dscnt 0x1
	v_add_f64_e32 v[132:133], v[8:9], v[36:37]
	s_wait_dscnt 0x0
	v_add_f64_e32 v[154:155], v[6:7], v[96:97]
	v_add_f64_e32 v[134:135], v[10:11], v[40:41]
	;; [unrolled: 1-line block ×4, first 2 shown]
	v_fma_f64 v[136:137], v[136:137], -0.5, v[8:9]
	v_fma_f64 v[8:9], v[146:147], -0.5, v[8:9]
	;; [unrolled: 1-line block ×4, first 2 shown]
	v_add_f64_e32 v[150:151], v[48:49], v[58:59]
	v_add_f64_e64 v[190:191], v[52:53], -v[60:61]
	v_add_f64_e64 v[194:195], v[22:23], -v[68:69]
	;; [unrolled: 1-line block ×4, first 2 shown]
	v_add_f64_e32 v[233:234], v[116:117], v[24:25]
	v_add_f64_e32 v[237:238], v[110:111], v[70:71]
	v_add_f64_e64 v[215:216], v[110:111], -v[112:113]
	v_add_f64_e64 v[217:218], v[70:71], -v[82:83]
	v_fma_f64 v[138:139], v[138:139], -0.5, v[0:1]
	v_fma_f64 v[0:1], v[140:141], -0.5, v[0:1]
	;; [unrolled: 1-line block ×4, first 2 shown]
	v_add_f64_e64 v[144:145], v[104:105], -v[106:107]
	v_add_f64_e64 v[148:149], v[74:75], -v[86:87]
	v_fma_f64 v[12:13], v[12:13], -0.5, v[4:5]
	v_fma_f64 v[4:5], v[14:15], -0.5, v[4:5]
	;; [unrolled: 1-line block ×3, first 2 shown]
	v_add_f64_e32 v[124:125], v[106:107], v[86:87]
	v_add_f64_e32 v[186:187], v[186:187], v[188:189]
	;; [unrolled: 1-line block ×3, first 2 shown]
	v_fma_f64 v[6:7], v[156:157], -0.5, v[6:7]
	v_add_f64_e32 v[156:157], v[104:105], v[74:75]
	v_add_f64_e32 v[206:207], v[206:207], v[209:210]
	;; [unrolled: 1-line block ×3, first 2 shown]
	v_add_f64_e64 v[196:197], v[44:45], -v[58:59]
	v_add_f64_e64 v[200:201], v[26:27], -v[16:17]
	;; [unrolled: 1-line block ×5, first 2 shown]
	v_add_f64_e32 v[182:183], v[182:183], v[184:185]
	v_add_f64_e64 v[184:185], v[52:53], -v[22:23]
	v_add_f64_e64 v[58:59], v[58:59], -v[16:17]
	v_fma_f64 v[176:177], v[176:177], -0.5, v[56:57]
	v_fma_f64 v[180:181], v[180:181], -0.5, v[48:49]
	v_add_f64_e32 v[52:53], v[130:131], v[52:53]
	v_add_f64_e32 v[126:127], v[126:127], v[42:43]
	;; [unrolled: 1-line block ×7, first 2 shown]
	v_add_f64_e64 v[231:232], v[118:119], -v[116:117]
	v_add_f64_e64 v[239:240], v[112:113], -v[110:111]
	v_fma_f64 v[56:57], v[192:193], -0.5, v[56:57]
	v_fma_f64 v[48:49], v[198:199], -0.5, v[48:49]
	v_add_f64_e32 v[150:151], v[150:151], v[44:45]
	v_add_f64_e64 v[44:45], v[44:45], -v[26:27]
	v_add_f64_e32 v[128:129], v[128:129], v[46:47]
	v_add_f64_e64 v[46:47], v[46:47], -v[20:21]
	v_add_f64_e64 v[42:43], v[42:43], -v[18:19]
	;; [unrolled: 1-line block ×4, first 2 shown]
	v_add_f64_e32 v[134:135], v[134:135], v[54:55]
	v_add_f64_e32 v[132:133], v[132:133], v[50:51]
	v_add_f64_e32 v[152:153], v[152:153], v[92:93]
	v_fma_f64 v[221:222], v[221:222], -0.5, v[102:103]
	v_fma_f64 v[219:220], v[219:220], -0.5, v[94:95]
	v_add_f64_e64 v[192:193], v[92:93], -v[88:89]
	v_add_f64_e32 v[190:191], v[190:191], v[194:195]
	v_add_f64_e64 v[194:195], v[76:77], -v[64:65]
	v_add_f64_e64 v[198:199], v[108:109], -v[114:115]
	v_add_f64_e32 v[211:212], v[211:212], v[213:214]
	v_add_f64_e64 v[213:214], v[84:85], -v[72:73]
	v_add_f64_e64 v[118:119], v[118:119], -v[80:81]
	;; [unrolled: 1-line block ×3, first 2 shown]
	v_fma_f64 v[102:103], v[237:238], -0.5, v[102:103]
	v_fma_f64 v[94:95], v[233:234], -0.5, v[94:95]
	v_add_f64_e64 v[253:254], v[114:115], -v[108:109]
	v_add_f64_e32 v[215:216], v[215:216], v[217:218]
	v_add_f64_e64 v[217:218], v[106:107], -v[104:105]
	v_add_f64_e64 v[130:131], v[86:87], -v[74:75]
	;; [unrolled: 1-line block ×4, first 2 shown]
	v_add_f64_e32 v[144:145], v[144:145], v[148:149]
	v_fma_f64 v[124:125], v[124:125], -0.5, v[100:101]
	v_fma_f64 v[148:149], v[188:189], -0.5, v[90:91]
	v_add_f64_e64 v[223:224], v[50:51], -v[36:37]
	v_add_f64_e64 v[225:226], v[28:29], -v[62:63]
	;; [unrolled: 1-line block ×9, first 2 shown]
	v_fma_f64 v[100:101], v[156:157], -0.5, v[100:101]
	v_fma_f64 v[90:91], v[209:210], -0.5, v[90:91]
	v_add_f64_e64 v[235:236], v[80:81], -v[24:25]
	v_add_f64_e64 v[249:250], v[96:97], -v[98:99]
	;; [unrolled: 1-line block ×4, first 2 shown]
	v_add_f64_e32 v[196:197], v[196:197], v[200:201]
	v_add_f64_e64 v[200:201], v[98:99], -v[96:97]
	v_add_f64_e32 v[202:203], v[202:203], v[204:205]
	v_add_f64_e64 v[204:205], v[78:79], -v[66:67]
	v_add_f64_e64 v[98:99], v[98:99], -v[78:79]
	v_add_f64_e32 v[18:19], v[126:127], v[18:19]
	v_add_f64_e32 v[22:23], v[52:53], v[22:23]
	v_add_f64_e32 v[52:53], v[160:161], v[80:81]
	v_add_f64_e32 v[80:81], v[164:165], v[82:83]
	v_add_f64_e32 v[78:79], v[154:155], v[78:79]
	v_add_f64_e32 v[82:83], v[168:169], v[84:85]
	v_add_f64_e32 v[84:85], v[174:175], v[86:87]
	v_fma_f64 v[86:87], v[60:61], s[12:13], v[180:181]
	v_fma_f64 v[126:127], v[58:59], s[4:5], v[176:177]
	v_add_f64_e64 v[245:246], v[88:89], -v[92:93]
	v_add_f64_e64 v[247:248], v[64:65], -v[76:77]
	;; [unrolled: 1-line block ×6, first 2 shown]
	v_add_f64_e32 v[26:27], v[150:151], v[26:27]
	v_add_f64_e32 v[28:29], v[132:133], v[28:29]
	;; [unrolled: 1-line block ×4, first 2 shown]
	v_fma_f64 v[134:135], v[184:185], s[4:5], v[48:49]
	v_fma_f64 v[150:151], v[44:45], s[12:13], v[56:57]
	;; [unrolled: 1-line block ×12, first 2 shown]
	v_add_f64_e32 v[156:157], v[192:193], v[194:195]
	v_add_f64_e32 v[192:193], v[198:199], v[213:214]
	v_fma_f64 v[194:195], v[118:119], s[4:5], v[102:103]
	v_fma_f64 v[198:199], v[112:113], s[12:13], v[94:95]
	v_fma_f64 v[94:95], v[112:113], s[4:5], v[94:95]
	v_fma_f64 v[102:103], v[118:119], s[12:13], v[102:103]
	v_fma_f64 v[209:210], v[110:111], s[12:13], v[219:220]
	v_fma_f64 v[213:214], v[116:117], s[4:5], v[221:222]
	v_add_f64_e64 v[96:97], v[96:97], -v[66:67]
	v_add_f64_e32 v[130:131], v[217:218], v[130:131]
	v_fma_f64 v[217:218], v[114:115], s[12:13], v[124:125]
	v_fma_f64 v[219:220], v[104:105], s[4:5], v[148:149]
	v_add_f64_e64 v[88:89], v[88:89], -v[64:65]
	v_add_f64_e32 v[223:224], v[223:224], v[225:226]
	v_add_f64_e32 v[225:226], v[227:228], v[229:230]
	;; [unrolled: 1-line block ×4, first 2 shown]
	v_fma_f64 v[128:129], v[38:39], s[4:5], v[138:139]
	v_fma_f64 v[138:139], v[38:39], s[12:13], v[138:139]
	;; [unrolled: 1-line block ×10, first 2 shown]
	v_add_f64_e32 v[22:23], v[22:23], v[68:69]
	v_add_f64_e32 v[24:25], v[52:53], v[24:25]
	;; [unrolled: 1-line block ×3, first 2 shown]
	v_fma_f64 v[66:67], v[184:185], s[10:11], v[86:87]
	v_fma_f64 v[68:69], v[44:45], s[0:1], v[126:127]
	v_add_f64_e64 v[36:37], v[36:37], -v[62:63]
	v_fma_f64 v[132:133], v[30:31], s[12:13], v[140:141]
	v_fma_f64 v[140:141], v[30:31], s[4:5], v[140:141]
	v_add_f64_e32 v[16:17], v[26:27], v[16:17]
	v_add_f64_e32 v[26:27], v[28:29], v[62:63]
	;; [unrolled: 1-line block ×5, first 2 shown]
	v_fma_f64 v[76:77], v[58:59], s[0:1], v[150:151]
	v_fma_f64 v[78:79], v[38:39], s[0:1], v[152:153]
	;; [unrolled: 1-line block ×11, first 2 shown]
	v_add_f64_e32 v[64:65], v[84:85], v[74:75]
	v_fma_f64 v[74:75], v[60:61], s[10:11], v[134:135]
	v_add_f64_e32 v[227:228], v[231:232], v[235:236]
	v_fma_f64 v[94:95], v[110:111], s[10:11], v[94:95]
	v_fma_f64 v[102:103], v[116:117], s[0:1], v[102:103]
	;; [unrolled: 1-line block ×6, first 2 shown]
	v_add_f64_e32 v[142:143], v[253:254], v[142:143]
	v_add_f64_e32 v[188:189], v[200:201], v[204:205]
	v_fma_f64 v[200:201], v[54:55], s[12:13], v[8:9]
	v_fma_f64 v[8:9], v[54:55], s[4:5], v[8:9]
	;; [unrolled: 1-line block ×22, first 2 shown]
	v_add_f64_e32 v[231:232], v[245:246], v[247:248]
	v_fma_f64 v[180:181], v[36:37], s[12:13], v[146:147]
	v_fma_f64 v[243:244], v[98:99], s[12:13], v[4:5]
	;; [unrolled: 1-line block ×5, first 2 shown]
	v_add_f64_e32 v[18:19], v[18:19], v[178:179]
	v_add_f64_e32 v[20:21], v[20:21], v[170:171]
	;; [unrolled: 1-line block ×3, first 2 shown]
	v_fma_f64 v[72:73], v[42:43], s[10:11], v[132:133]
	v_fma_f64 v[42:43], v[42:43], s[0:1], v[140:141]
	;; [unrolled: 1-line block ×21, first 2 shown]
	v_add_f64_e32 v[8:9], v[26:27], v[24:25]
	v_add_f64_e64 v[12:13], v[26:27], -v[24:25]
	v_fma_f64 v[24:25], v[144:145], s[14:15], v[116:117]
	v_fma_f64 v[26:27], v[142:143], s[14:15], v[118:119]
	v_fma_f64 v[128:129], v[36:37], s[10:11], v[204:205]
	v_fma_f64 v[36:37], v[36:37], s[0:1], v[10:11]
	v_fma_f64 v[134:135], v[92:93], s[10:11], v[235:236]
	v_fma_f64 v[92:93], v[92:93], s[0:1], v[14:15]
	v_add_f64_e32 v[10:11], v[28:29], v[32:33]
	v_add_f64_e64 v[14:15], v[28:29], -v[32:33]
	v_fma_f64 v[28:29], v[130:131], s[14:15], v[136:137]
	v_fma_f64 v[32:33], v[192:193], s[14:15], v[138:139]
	;; [unrolled: 1-line block ×6, first 2 shown]
	v_mul_f64_e32 v[116:117], s[0:1], v[66:67]
	v_mul_f64_e32 v[118:119], s[10:11], v[68:69]
	v_fma_f64 v[82:83], v[50:51], s[10:11], v[180:181]
	v_fma_f64 v[108:109], v[96:97], s[0:1], v[243:244]
	;; [unrolled: 1-line block ×5, first 2 shown]
	v_add_f64_e32 v[0:1], v[18:19], v[22:23]
	v_add_f64_e32 v[2:3], v[20:21], v[16:17]
	v_add_f64_e64 v[4:5], v[18:19], -v[22:23]
	v_add_f64_e64 v[6:7], v[20:21], -v[16:17]
	v_add_f64_e32 v[16:17], v[34:35], v[62:63]
	v_add_f64_e32 v[18:19], v[52:53], v[64:65]
	v_add_f64_e64 v[20:21], v[34:35], -v[62:63]
	v_add_f64_e64 v[22:23], v[52:53], -v[64:65]
	v_mul_f64_e32 v[52:53], s[14:15], v[140:141]
	v_fma_f64 v[62:63], v[158:159], s[14:15], v[70:71]
	v_fma_f64 v[64:65], v[162:163], s[14:15], v[72:73]
	v_mul_f64_e32 v[70:71], s[16:17], v[44:45]
	v_mul_f64_e32 v[72:73], s[16:17], v[48:49]
	;; [unrolled: 1-line block ×7, first 2 shown]
	v_fma_f64 v[148:149], v[158:159], s[14:15], v[46:47]
	v_fma_f64 v[150:151], v[162:163], s[14:15], v[42:43]
	v_mul_f64_e32 v[42:43], s[14:15], v[94:95]
	v_mul_f64_e32 v[46:47], s[14:15], v[102:103]
	v_fma_f64 v[50:51], v[50:51], s[0:1], v[146:147]
	v_fma_f64 v[144:145], v[182:183], s[14:15], v[38:39]
	;; [unrolled: 1-line block ×3, first 2 shown]
	v_mul_f64_e32 v[30:31], s[4:5], v[84:85]
	v_mul_f64_e32 v[38:39], s[12:13], v[86:87]
	;; [unrolled: 1-line block ×4, first 2 shown]
	v_add_f64_e32 v[233:234], v[249:250], v[251:252]
	v_mul_f64_e32 v[158:159], s[0:1], v[24:25]
	v_mul_f64_e32 v[160:161], s[10:11], v[26:27]
	;; [unrolled: 1-line block ×8, first 2 shown]
	v_fma_f64 v[68:69], v[68:69], s[16:17], v[116:117]
	v_fma_f64 v[66:67], v[66:67], s[16:17], v[118:119]
	;; [unrolled: 1-line block ×8, first 2 shown]
	v_fma_f64 v[52:53], v[124:125], s[12:13], -v[52:53]
	v_fma_f64 v[124:125], v[202:203], s[14:15], v[54:55]
	v_fma_f64 v[128:129], v[225:226], s[14:15], v[36:37]
	v_fma_f64 v[54:55], v[48:49], s[0:1], -v[70:71]
	v_fma_f64 v[70:71], v[44:45], s[10:11], -v[72:73]
	v_fma_f64 v[72:73], v[58:59], s[16:17], v[138:139]
	v_fma_f64 v[138:139], v[56:57], s[16:17], v[142:143]
	;; [unrolled: 1-line block ×3, first 2 shown]
	v_fma_f64 v[130:131], v[140:141], s[4:5], -v[34:35]
	v_fma_f64 v[74:75], v[74:75], s[14:15], v[136:137]
	v_fma_f64 v[108:109], v[156:157], s[14:15], v[108:109]
	;; [unrolled: 1-line block ×3, first 2 shown]
	v_fma_f64 v[102:103], v[102:103], s[4:5], -v[42:43]
	v_fma_f64 v[156:157], v[94:95], s[12:13], -v[46:47]
	v_fma_f64 v[78:79], v[182:183], s[14:15], v[78:79]
	v_fma_f64 v[136:137], v[206:207], s[14:15], v[50:51]
	;; [unrolled: 1-line block ×5, first 2 shown]
	v_fma_f64 v[88:89], v[112:113], s[0:1], -v[152:153]
	v_fma_f64 v[94:95], v[110:111], s[10:11], -v[154:155]
	v_fma_f64 v[132:133], v[231:232], s[14:15], v[132:133]
	v_fma_f64 v[134:135], v[233:234], s[14:15], v[134:135]
	;; [unrolled: 1-line block ×7, first 2 shown]
	v_fma_f64 v[162:163], v[100:101], s[4:5], -v[166:167]
	v_fma_f64 v[164:165], v[90:91], s[12:13], -v[168:169]
	v_fma_f64 v[152:153], v[231:232], s[14:15], v[98:99]
	v_fma_f64 v[154:155], v[233:234], s[14:15], v[92:93]
	v_fma_f64 v[166:167], v[106:107], s[0:1], -v[170:171]
	v_fma_f64 v[168:169], v[104:105], s[10:11], -v[172:173]
	v_add_f64_e32 v[24:25], v[62:63], v[68:69]
	v_add_f64_e32 v[26:27], v[64:65], v[66:67]
	v_add_f64_e64 v[28:29], v[62:63], -v[68:69]
	v_add_f64_e64 v[30:31], v[64:65], -v[66:67]
	v_add_f64_e32 v[42:43], v[146:147], v[52:53]
	v_add_f64_e64 v[46:47], v[146:147], -v[52:53]
	global_wb scope:SCOPE_SE
	v_add_f64_e32 v[48:49], v[148:149], v[54:55]
	v_add_f64_e32 v[50:51], v[150:151], v[70:71]
	;; [unrolled: 1-line block ×4, first 2 shown]
	v_add_f64_e64 v[60:61], v[60:61], -v[72:73]
	v_add_f64_e32 v[40:41], v[144:145], v[130:131]
	v_add_f64_e32 v[34:35], v[80:81], v[74:75]
	v_add_f64_e64 v[38:39], v[80:81], -v[74:75]
	v_add_f64_e64 v[52:53], v[148:149], -v[54:55]
	v_add_f64_e32 v[72:73], v[126:127], v[102:103]
	v_add_f64_e32 v[74:75], v[128:129], v[156:157]
	v_add_f64_e64 v[36:37], v[78:79], -v[76:77]
	v_add_f64_e64 v[54:55], v[150:151], -v[70:71]
	;; [unrolled: 1-line block ×7, first 2 shown]
	v_add_f64_e32 v[32:33], v[78:79], v[76:77]
	v_add_f64_e32 v[64:65], v[116:117], v[86:87]
	;; [unrolled: 1-line block ×13, first 2 shown]
	v_add_f64_e64 v[104:105], v[132:133], -v[110:111]
	v_add_f64_e64 v[106:107], v[134:135], -v[112:113]
	;; [unrolled: 1-line block ×11, first 2 shown]
	s_barrier_signal -1
	s_barrier_wait -1
	global_inv scope:SCOPE_SE
	ds_store_b128 v208, v[4:7] offset:24000
	ds_store_b128 v208, v[12:15] offset:25600
	;; [unrolled: 1-line block ×28, first 2 shown]
	ds_store_b128 v208, v[0:3]
	ds_store_b128 v208, v[116:119] offset:46400
	global_wb scope:SCOPE_SE
	s_wait_dscnt 0x0
	s_barrier_signal -1
	s_barrier_wait -1
	global_inv scope:SCOPE_SE
	s_and_saveexec_b32 s0, vcc_lo
	s_cbranch_execz .LBB0_21
; %bb.20:
	v_mul_lo_u32 v2, s3, v241
	v_mul_lo_u32 v3, s2, v242
	v_mad_co_u64_u32 v[0:1], null, s2, v241, 0
	v_dual_mov_b32 v121, 0 :: v_dual_add_nc_u32 v6, 0x64, v120
	v_lshlrev_b64_e32 v[4:5], 4, v[122:123]
	v_add_nc_u32_e32 v10, 0xc8, v120
	v_lshl_add_u32 v40, v120, 4, 0
	s_delay_alu instid0(VALU_DEP_4) | instskip(SKIP_4) | instid1(VALU_DEP_4)
	v_mov_b32_e32 v7, v121
	v_add3_u32 v1, v1, v3, v2
	v_lshlrev_b64_e32 v[12:13], 4, v[120:121]
	v_dual_mov_b32 v11, v121 :: v_dual_add_nc_u32 v16, 0x12c, v120
	v_dual_mov_b32 v17, v121 :: v_dual_add_nc_u32 v20, 0x190, v120
	v_lshlrev_b64_e32 v[8:9], 4, v[0:1]
	ds_load_b128 v[0:3], v40
	v_lshlrev_b64_e32 v[18:19], 4, v[10:11]
	v_lshlrev_b64_e32 v[16:17], 4, v[16:17]
	v_dual_mov_b32 v21, v121 :: v_dual_add_nc_u32 v38, 0x1f4, v120
	v_add_co_u32 v8, vcc_lo, s6, v8
	s_wait_alu 0xfffd
	v_add_co_ci_u32_e32 v9, vcc_lo, s7, v9, vcc_lo
	s_delay_alu instid0(VALU_DEP_3) | instskip(NEXT) | instid1(VALU_DEP_3)
	v_lshlrev_b64_e32 v[36:37], 4, v[20:21]
	v_add_co_u32 v41, vcc_lo, v8, v4
	s_wait_alu 0xfffd
	s_delay_alu instid0(VALU_DEP_3) | instskip(SKIP_1) | instid1(VALU_DEP_3)
	v_add_co_ci_u32_e32 v42, vcc_lo, v9, v5, vcc_lo
	v_lshlrev_b64_e32 v[4:5], 4, v[6:7]
	v_add_co_u32 v28, vcc_lo, v41, v12
	s_wait_alu 0xfffd
	s_delay_alu instid0(VALU_DEP_3) | instskip(SKIP_1) | instid1(VALU_DEP_4)
	v_add_co_ci_u32_e32 v29, vcc_lo, v42, v13, vcc_lo
	v_mov_b32_e32 v39, v121
	v_add_co_u32 v30, vcc_lo, v41, v4
	s_wait_alu 0xfffd
	v_add_co_ci_u32_e32 v31, vcc_lo, v42, v5, vcc_lo
	ds_load_b128 v[4:7], v40 offset:1600
	ds_load_b128 v[8:11], v40 offset:3200
	ds_load_b128 v[12:15], v40 offset:4800
	v_add_co_u32 v32, vcc_lo, v41, v18
	s_wait_alu 0xfffd
	v_add_co_ci_u32_e32 v33, vcc_lo, v42, v19, vcc_lo
	v_add_co_u32 v34, vcc_lo, v41, v16
	s_wait_alu 0xfffd
	v_add_co_ci_u32_e32 v35, vcc_lo, v42, v17, vcc_lo
	ds_load_b128 v[16:19], v40 offset:6400
	ds_load_b128 v[20:23], v40 offset:8000
	;; [unrolled: 1-line block ×3, first 2 shown]
	s_wait_dscnt 0x6
	global_store_b128 v[28:29], v[0:3], off
	s_wait_dscnt 0x5
	global_store_b128 v[30:31], v[4:7], off
	;; [unrolled: 2-line block ×4, first 2 shown]
	v_add_nc_u32_e32 v2, 0x258, v120
	v_lshlrev_b64_e32 v[0:1], 4, v[38:39]
	v_add_co_u32 v4, vcc_lo, v41, v36
	v_dual_mov_b32 v3, v121 :: v_dual_add_nc_u32 v8, 0x2bc, v120
	s_wait_alu 0xfffd
	v_add_co_ci_u32_e32 v5, vcc_lo, v42, v37, vcc_lo
	s_delay_alu instid0(VALU_DEP_4)
	v_add_co_u32 v6, vcc_lo, v41, v0
	v_mov_b32_e32 v9, v121
	s_wait_alu 0xfffd
	v_add_co_ci_u32_e32 v7, vcc_lo, v42, v1, vcc_lo
	v_lshlrev_b64_e32 v[10:11], 4, v[2:3]
	ds_load_b128 v[0:3], v40 offset:9600
	s_wait_dscnt 0x3
	global_store_b128 v[4:5], v[16:19], off
	s_wait_dscnt 0x2
	global_store_b128 v[6:7], v[20:23], off
	v_add_nc_u32_e32 v6, 0x320, v120
	v_lshlrev_b64_e32 v[4:5], 4, v[8:9]
	v_dual_mov_b32 v7, v121 :: v_dual_add_nc_u32 v16, 0x384, v120
	v_add_co_u32 v28, vcc_lo, v41, v10
	s_wait_alu 0xfffd
	v_add_co_ci_u32_e32 v29, vcc_lo, v42, v11, vcc_lo
	s_delay_alu instid0(VALU_DEP_4)
	v_add_co_u32 v30, vcc_lo, v41, v4
	v_dual_mov_b32 v17, v121 :: v_dual_add_nc_u32 v20, 0x3e8, v120
	s_wait_alu 0xfffd
	v_add_co_ci_u32_e32 v31, vcc_lo, v42, v5, vcc_lo
	v_lshlrev_b64_e32 v[18:19], 4, v[6:7]
	ds_load_b128 v[4:7], v40 offset:11200
	ds_load_b128 v[8:11], v40 offset:12800
	ds_load_b128 v[12:15], v40 offset:14400
	v_lshlrev_b64_e32 v[16:17], 4, v[16:17]
	v_dual_mov_b32 v21, v121 :: v_dual_add_nc_u32 v38, 0x44c, v120
	v_add_co_u32 v32, vcc_lo, v41, v18
	s_wait_alu 0xfffd
	v_add_co_ci_u32_e32 v33, vcc_lo, v42, v19, vcc_lo
	s_delay_alu instid0(VALU_DEP_4)
	v_add_co_u32 v34, vcc_lo, v41, v16
	s_wait_alu 0xfffd
	v_add_co_ci_u32_e32 v35, vcc_lo, v42, v17, vcc_lo
	ds_load_b128 v[16:19], v40 offset:16000
	v_lshlrev_b64_e32 v[36:37], 4, v[20:21]
	ds_load_b128 v[20:23], v40 offset:17600
	s_wait_dscnt 0x5
	global_store_b128 v[28:29], v[0:3], off
	s_wait_dscnt 0x4
	global_store_b128 v[30:31], v[4:7], off
	;; [unrolled: 2-line block ×4, first 2 shown]
	v_lshlrev_b64_e32 v[0:1], 4, v[38:39]
	v_add_co_u32 v4, vcc_lo, v41, v36
	v_dual_mov_b32 v3, v121 :: v_dual_add_nc_u32 v2, 0x4b0, v120
	s_wait_alu 0xfffd
	v_add_co_ci_u32_e32 v5, vcc_lo, v42, v37, vcc_lo
	s_delay_alu instid0(VALU_DEP_4)
	v_add_co_u32 v6, vcc_lo, v41, v0
	v_dual_mov_b32 v9, v121 :: v_dual_add_nc_u32 v8, 0x514, v120
	s_wait_alu 0xfffd
	v_add_co_ci_u32_e32 v7, vcc_lo, v42, v1, vcc_lo
	v_lshlrev_b64_e32 v[10:11], 4, v[2:3]
	ds_load_b128 v[0:3], v40 offset:19200
	s_wait_dscnt 0x2
	global_store_b128 v[4:5], v[16:19], off
	s_wait_dscnt 0x1
	global_store_b128 v[6:7], v[20:23], off
	v_lshlrev_b64_e32 v[4:5], 4, v[8:9]
	v_dual_mov_b32 v7, v121 :: v_dual_add_nc_u32 v6, 0x578, v120
	v_add_co_u32 v28, vcc_lo, v41, v10
	s_wait_alu 0xfffd
	v_add_co_ci_u32_e32 v29, vcc_lo, v42, v11, vcc_lo
	s_delay_alu instid0(VALU_DEP_4)
	v_add_co_u32 v30, vcc_lo, v41, v4
	v_dual_mov_b32 v17, v121 :: v_dual_add_nc_u32 v16, 0x5dc, v120
	s_wait_alu 0xfffd
	v_add_co_ci_u32_e32 v31, vcc_lo, v42, v5, vcc_lo
	v_lshlrev_b64_e32 v[18:19], 4, v[6:7]
	ds_load_b128 v[4:7], v40 offset:20800
	ds_load_b128 v[8:11], v40 offset:22400
	;; [unrolled: 1-line block ×3, first 2 shown]
	v_lshlrev_b64_e32 v[16:17], 4, v[16:17]
	v_dual_mov_b32 v21, v121 :: v_dual_add_nc_u32 v20, 0x640, v120
	v_add_nc_u32_e32 v38, 0x6a4, v120
	v_add_co_u32 v32, vcc_lo, v41, v18
	s_wait_alu 0xfffd
	v_add_co_ci_u32_e32 v33, vcc_lo, v42, v19, vcc_lo
	v_add_co_u32 v34, vcc_lo, v41, v16
	s_wait_alu 0xfffd
	v_add_co_ci_u32_e32 v35, vcc_lo, v42, v17, vcc_lo
	ds_load_b128 v[16:19], v40 offset:25600
	v_lshlrev_b64_e32 v[36:37], 4, v[20:21]
	ds_load_b128 v[20:23], v40 offset:27200
	s_wait_dscnt 0x5
	global_store_b128 v[28:29], v[0:3], off
	s_wait_dscnt 0x4
	global_store_b128 v[30:31], v[4:7], off
	;; [unrolled: 2-line block ×4, first 2 shown]
	v_mov_b32_e32 v3, v121
	v_lshlrev_b64_e32 v[0:1], 4, v[38:39]
	v_add_co_u32 v4, vcc_lo, v41, v36
	v_dual_mov_b32 v9, v121 :: v_dual_add_nc_u32 v2, 0x708, v120
	s_wait_alu 0xfffd
	v_add_co_ci_u32_e32 v5, vcc_lo, v42, v37, vcc_lo
	s_delay_alu instid0(VALU_DEP_4)
	v_add_co_u32 v6, vcc_lo, v41, v0
	v_add_nc_u32_e32 v8, 0x76c, v120
	s_wait_alu 0xfffd
	v_add_co_ci_u32_e32 v7, vcc_lo, v42, v1, vcc_lo
	v_lshlrev_b64_e32 v[10:11], 4, v[2:3]
	ds_load_b128 v[0:3], v40 offset:28800
	s_wait_dscnt 0x2
	global_store_b128 v[4:5], v[16:19], off
	s_wait_dscnt 0x1
	global_store_b128 v[6:7], v[20:23], off
	v_mov_b32_e32 v7, v121
	v_lshlrev_b64_e32 v[4:5], 4, v[8:9]
	v_dual_mov_b32 v17, v121 :: v_dual_add_nc_u32 v6, 0x7d0, v120
	v_add_co_u32 v28, vcc_lo, v41, v10
	s_wait_alu 0xfffd
	v_add_co_ci_u32_e32 v29, vcc_lo, v42, v11, vcc_lo
	s_delay_alu instid0(VALU_DEP_4)
	v_add_co_u32 v30, vcc_lo, v41, v4
	v_dual_mov_b32 v21, v121 :: v_dual_add_nc_u32 v16, 0x834, v120
	s_wait_alu 0xfffd
	v_add_co_ci_u32_e32 v31, vcc_lo, v42, v5, vcc_lo
	v_lshlrev_b64_e32 v[18:19], 4, v[6:7]
	ds_load_b128 v[4:7], v40 offset:30400
	ds_load_b128 v[8:11], v40 offset:32000
	;; [unrolled: 1-line block ×3, first 2 shown]
	v_lshlrev_b64_e32 v[16:17], 4, v[16:17]
	v_add_nc_u32_e32 v20, 0x898, v120
	v_add_nc_u32_e32 v38, 0x8fc, v120
	v_add_co_u32 v32, vcc_lo, v41, v18
	s_wait_alu 0xfffd
	v_add_co_ci_u32_e32 v33, vcc_lo, v42, v19, vcc_lo
	v_add_co_u32 v34, vcc_lo, v41, v16
	s_wait_alu 0xfffd
	v_add_co_ci_u32_e32 v35, vcc_lo, v42, v17, vcc_lo
	ds_load_b128 v[16:19], v40 offset:35200
	v_lshlrev_b64_e32 v[36:37], 4, v[20:21]
	ds_load_b128 v[20:23], v40 offset:36800
	s_wait_dscnt 0x5
	global_store_b128 v[28:29], v[0:3], off
	s_wait_dscnt 0x4
	global_store_b128 v[30:31], v[4:7], off
	;; [unrolled: 2-line block ×4, first 2 shown]
	v_mov_b32_e32 v9, v121
	v_lshlrev_b64_e32 v[0:1], 4, v[38:39]
	v_add_co_u32 v4, vcc_lo, v41, v36
	v_dual_mov_b32 v13, v121 :: v_dual_add_nc_u32 v2, 0x960, v120
	v_mov_b32_e32 v3, v121
	s_wait_alu 0xfffd
	v_add_co_ci_u32_e32 v5, vcc_lo, v42, v37, vcc_lo
	v_add_co_u32 v6, vcc_lo, v41, v0
	v_dual_mov_b32 v15, v121 :: v_dual_add_nc_u32 v8, 0x9c4, v120
	s_wait_alu 0xfffd
	v_add_co_ci_u32_e32 v7, vcc_lo, v42, v1, vcc_lo
	v_lshlrev_b64_e32 v[10:11], 4, v[2:3]
	v_dual_mov_b32 v29, v121 :: v_dual_add_nc_u32 v12, 0xa28, v120
	ds_load_b128 v[0:3], v40 offset:38400
	s_wait_dscnt 0x2
	global_store_b128 v[4:5], v[16:19], off
	s_wait_dscnt 0x1
	global_store_b128 v[6:7], v[20:23], off
	v_lshlrev_b64_e32 v[4:5], 4, v[8:9]
	v_add_co_u32 v20, vcc_lo, v41, v10
	v_lshlrev_b64_e32 v[12:13], 4, v[12:13]
	s_wait_alu 0xfffd
	v_add_co_ci_u32_e32 v21, vcc_lo, v42, v11, vcc_lo
	s_delay_alu instid0(VALU_DEP_4)
	v_add_co_u32 v22, vcc_lo, v41, v4
	v_add_nc_u32_e32 v14, 0xa8c, v120
	s_wait_alu 0xfffd
	v_add_co_ci_u32_e32 v23, vcc_lo, v42, v5, vcc_lo
	v_add_co_u32 v30, vcc_lo, v41, v12
	ds_load_b128 v[4:7], v40 offset:40000
	ds_load_b128 v[8:11], v40 offset:41600
	s_wait_alu 0xfffd
	v_add_co_ci_u32_e32 v31, vcc_lo, v42, v13, vcc_lo
	v_lshlrev_b64_e32 v[32:33], 4, v[14:15]
	ds_load_b128 v[12:15], v40 offset:43200
	ds_load_b128 v[16:19], v40 offset:44800
	v_add_nc_u32_e32 v28, 0xaf0, v120
	v_add_nc_u32_e32 v120, 0xb54, v120
	v_add_co_u32 v32, vcc_lo, v41, v32
	s_delay_alu instid0(VALU_DEP_3) | instskip(NEXT) | instid1(VALU_DEP_3)
	v_lshlrev_b64_e32 v[28:29], 4, v[28:29]
	v_lshlrev_b64_e32 v[34:35], 4, v[120:121]
	s_wait_alu 0xfffd
	v_add_co_ci_u32_e32 v33, vcc_lo, v42, v33, vcc_lo
	s_delay_alu instid0(VALU_DEP_3)
	v_add_co_u32 v28, vcc_lo, v41, v28
	s_wait_alu 0xfffd
	v_add_co_ci_u32_e32 v29, vcc_lo, v42, v29, vcc_lo
	v_add_co_u32 v34, vcc_lo, v41, v34
	s_wait_alu 0xfffd
	v_add_co_ci_u32_e32 v35, vcc_lo, v42, v35, vcc_lo
	s_wait_dscnt 0x4
	global_store_b128 v[20:21], v[0:3], off
	s_wait_dscnt 0x3
	global_store_b128 v[22:23], v[4:7], off
	;; [unrolled: 2-line block ×4, first 2 shown]
	s_wait_dscnt 0x0
	s_clause 0x1
	global_store_b128 v[28:29], v[16:19], off
	global_store_b128 v[34:35], v[24:27], off
.LBB0_21:
	s_nop 0
	s_sendmsg sendmsg(MSG_DEALLOC_VGPRS)
	s_endpgm
	.section	.rodata,"a",@progbits
	.p2align	6, 0x0
	.amdhsa_kernel fft_rtc_fwd_len3000_factors_10_3_10_10_wgs_100_tpt_100_halfLds_dp_op_CI_CI_unitstride_sbrr_C2R_dirReg
		.amdhsa_group_segment_fixed_size 0
		.amdhsa_private_segment_fixed_size 76
		.amdhsa_kernarg_size 104
		.amdhsa_user_sgpr_count 2
		.amdhsa_user_sgpr_dispatch_ptr 0
		.amdhsa_user_sgpr_queue_ptr 0
		.amdhsa_user_sgpr_kernarg_segment_ptr 1
		.amdhsa_user_sgpr_dispatch_id 0
		.amdhsa_user_sgpr_private_segment_size 0
		.amdhsa_wavefront_size32 1
		.amdhsa_uses_dynamic_stack 0
		.amdhsa_enable_private_segment 1
		.amdhsa_system_sgpr_workgroup_id_x 1
		.amdhsa_system_sgpr_workgroup_id_y 0
		.amdhsa_system_sgpr_workgroup_id_z 0
		.amdhsa_system_sgpr_workgroup_info 0
		.amdhsa_system_vgpr_workitem_id 0
		.amdhsa_next_free_vgpr 256
		.amdhsa_next_free_sgpr 39
		.amdhsa_reserve_vcc 1
		.amdhsa_float_round_mode_32 0
		.amdhsa_float_round_mode_16_64 0
		.amdhsa_float_denorm_mode_32 3
		.amdhsa_float_denorm_mode_16_64 3
		.amdhsa_fp16_overflow 0
		.amdhsa_workgroup_processor_mode 1
		.amdhsa_memory_ordered 1
		.amdhsa_forward_progress 0
		.amdhsa_round_robin_scheduling 0
		.amdhsa_exception_fp_ieee_invalid_op 0
		.amdhsa_exception_fp_denorm_src 0
		.amdhsa_exception_fp_ieee_div_zero 0
		.amdhsa_exception_fp_ieee_overflow 0
		.amdhsa_exception_fp_ieee_underflow 0
		.amdhsa_exception_fp_ieee_inexact 0
		.amdhsa_exception_int_div_zero 0
	.end_amdhsa_kernel
	.text
.Lfunc_end0:
	.size	fft_rtc_fwd_len3000_factors_10_3_10_10_wgs_100_tpt_100_halfLds_dp_op_CI_CI_unitstride_sbrr_C2R_dirReg, .Lfunc_end0-fft_rtc_fwd_len3000_factors_10_3_10_10_wgs_100_tpt_100_halfLds_dp_op_CI_CI_unitstride_sbrr_C2R_dirReg
                                        ; -- End function
	.section	.AMDGPU.csdata,"",@progbits
; Kernel info:
; codeLenInByte = 23180
; NumSgprs: 41
; NumVgprs: 256
; ScratchSize: 76
; MemoryBound: 0
; FloatMode: 240
; IeeeMode: 1
; LDSByteSize: 0 bytes/workgroup (compile time only)
; SGPRBlocks: 5
; VGPRBlocks: 31
; NumSGPRsForWavesPerEU: 41
; NumVGPRsForWavesPerEU: 256
; Occupancy: 5
; WaveLimiterHint : 1
; COMPUTE_PGM_RSRC2:SCRATCH_EN: 1
; COMPUTE_PGM_RSRC2:USER_SGPR: 2
; COMPUTE_PGM_RSRC2:TRAP_HANDLER: 0
; COMPUTE_PGM_RSRC2:TGID_X_EN: 1
; COMPUTE_PGM_RSRC2:TGID_Y_EN: 0
; COMPUTE_PGM_RSRC2:TGID_Z_EN: 0
; COMPUTE_PGM_RSRC2:TIDIG_COMP_CNT: 0
	.text
	.p2alignl 7, 3214868480
	.fill 96, 4, 3214868480
	.type	__hip_cuid_f5876ef0cda10806,@object ; @__hip_cuid_f5876ef0cda10806
	.section	.bss,"aw",@nobits
	.globl	__hip_cuid_f5876ef0cda10806
__hip_cuid_f5876ef0cda10806:
	.byte	0                               ; 0x0
	.size	__hip_cuid_f5876ef0cda10806, 1

	.ident	"AMD clang version 19.0.0git (https://github.com/RadeonOpenCompute/llvm-project roc-6.4.0 25133 c7fe45cf4b819c5991fe208aaa96edf142730f1d)"
	.section	".note.GNU-stack","",@progbits
	.addrsig
	.addrsig_sym __hip_cuid_f5876ef0cda10806
	.amdgpu_metadata
---
amdhsa.kernels:
  - .args:
      - .actual_access:  read_only
        .address_space:  global
        .offset:         0
        .size:           8
        .value_kind:     global_buffer
      - .offset:         8
        .size:           8
        .value_kind:     by_value
      - .actual_access:  read_only
        .address_space:  global
        .offset:         16
        .size:           8
        .value_kind:     global_buffer
      - .actual_access:  read_only
        .address_space:  global
        .offset:         24
        .size:           8
        .value_kind:     global_buffer
      - .actual_access:  read_only
        .address_space:  global
        .offset:         32
        .size:           8
        .value_kind:     global_buffer
      - .offset:         40
        .size:           8
        .value_kind:     by_value
      - .actual_access:  read_only
        .address_space:  global
        .offset:         48
        .size:           8
        .value_kind:     global_buffer
      - .actual_access:  read_only
        .address_space:  global
        .offset:         56
        .size:           8
        .value_kind:     global_buffer
      - .offset:         64
        .size:           4
        .value_kind:     by_value
      - .actual_access:  read_only
        .address_space:  global
        .offset:         72
        .size:           8
        .value_kind:     global_buffer
      - .actual_access:  read_only
        .address_space:  global
        .offset:         80
        .size:           8
        .value_kind:     global_buffer
      - .actual_access:  read_only
        .address_space:  global
        .offset:         88
        .size:           8
        .value_kind:     global_buffer
      - .actual_access:  write_only
        .address_space:  global
        .offset:         96
        .size:           8
        .value_kind:     global_buffer
    .group_segment_fixed_size: 0
    .kernarg_segment_align: 8
    .kernarg_segment_size: 104
    .language:       OpenCL C
    .language_version:
      - 2
      - 0
    .max_flat_workgroup_size: 100
    .name:           fft_rtc_fwd_len3000_factors_10_3_10_10_wgs_100_tpt_100_halfLds_dp_op_CI_CI_unitstride_sbrr_C2R_dirReg
    .private_segment_fixed_size: 76
    .sgpr_count:     41
    .sgpr_spill_count: 0
    .symbol:         fft_rtc_fwd_len3000_factors_10_3_10_10_wgs_100_tpt_100_halfLds_dp_op_CI_CI_unitstride_sbrr_C2R_dirReg.kd
    .uniform_work_group_size: 1
    .uses_dynamic_stack: false
    .vgpr_count:     256
    .vgpr_spill_count: 19
    .wavefront_size: 32
    .workgroup_processor_mode: 1
amdhsa.target:   amdgcn-amd-amdhsa--gfx1201
amdhsa.version:
  - 1
  - 2
...

	.end_amdgpu_metadata
